;; amdgpu-corpus repo=ROCm/rocFFT kind=compiled arch=gfx1201 opt=O3
	.text
	.amdgcn_target "amdgcn-amd-amdhsa--gfx1201"
	.amdhsa_code_object_version 6
	.protected	bluestein_single_fwd_len153_dim1_dp_op_CI_CI ; -- Begin function bluestein_single_fwd_len153_dim1_dp_op_CI_CI
	.globl	bluestein_single_fwd_len153_dim1_dp_op_CI_CI
	.p2align	8
	.type	bluestein_single_fwd_len153_dim1_dp_op_CI_CI,@function
bluestein_single_fwd_len153_dim1_dp_op_CI_CI: ; @bluestein_single_fwd_len153_dim1_dp_op_CI_CI
; %bb.0:
	s_load_b128 s[4:7], s[0:1], 0x28
	v_mul_u32_u24_e32 v1, 0xf10, v0
	s_mov_b32 s2, exec_lo
	s_delay_alu instid0(VALU_DEP_1) | instskip(NEXT) | instid1(VALU_DEP_1)
	v_lshrrev_b32_e32 v1, 16, v1
	v_mad_co_u64_u32 v[116:117], null, ttmp9, 7, v[1:2]
	v_mov_b32_e32 v117, 0
	s_wait_kmcnt 0x0
	s_delay_alu instid0(VALU_DEP_1)
	v_cmpx_gt_u64_e64 s[4:5], v[116:117]
	s_cbranch_execz .LBB0_15
; %bb.1:
	v_mul_hi_u32 v2, 0x24924925, v116
	v_mul_lo_u16 v1, v1, 17
	s_clause 0x1
	s_load_b64 s[4:5], s[0:1], 0x0
	s_load_b64 s[12:13], s[0:1], 0x38
	s_delay_alu instid0(VALU_DEP_1) | instskip(NEXT) | instid1(VALU_DEP_3)
	v_sub_nc_u16 v0, v0, v1
	v_sub_nc_u32_e32 v3, v116, v2
	s_delay_alu instid0(VALU_DEP_2) | instskip(NEXT) | instid1(VALU_DEP_2)
	v_cmp_gt_u16_e32 vcc_lo, 9, v0
	v_lshrrev_b32_e32 v3, 1, v3
	s_delay_alu instid0(VALU_DEP_1) | instskip(NEXT) | instid1(VALU_DEP_1)
	v_add_nc_u32_e32 v2, v3, v2
	v_lshrrev_b32_e32 v2, 2, v2
	s_delay_alu instid0(VALU_DEP_1) | instskip(NEXT) | instid1(VALU_DEP_1)
	v_mul_lo_u32 v2, v2, 7
	v_sub_nc_u32_e32 v1, v116, v2
	v_and_b32_e32 v2, 0xffff, v0
	s_delay_alu instid0(VALU_DEP_2) | instskip(NEXT) | instid1(VALU_DEP_2)
	v_mul_u32_u24_e32 v1, 0x99, v1
	v_lshlrev_b32_e32 v255, 4, v2
	s_delay_alu instid0(VALU_DEP_2)
	v_lshlrev_b32_e32 v0, 4, v1
	s_clause 0x2
	scratch_store_b32 off, v1, off offset:4
	scratch_store_b32 off, v0, off offset:8
	scratch_store_b32 off, v2, off
	v_or_b32_e32 v0, 0x90, v2
	scratch_store_b32 off, v0, off offset:16 ; 4-byte Folded Spill
	s_and_saveexec_b32 s3, vcc_lo
	s_cbranch_execz .LBB0_3
; %bb.2:
	s_load_b64 s[8:9], s[0:1], 0x18
	s_wait_kmcnt 0x0
	s_load_b128 s[8:11], s[8:9], 0x0
	s_clause 0x1
	global_load_b128 v[0:3], v255, s[4:5]
	global_load_b128 v[4:7], v255, s[4:5] offset:144
	scratch_load_b32 v173, off, off         ; 4-byte Folded Reload
	s_clause 0x5
	global_load_b128 v[8:11], v255, s[4:5] offset:288
	global_load_b128 v[12:15], v255, s[4:5] offset:432
	;; [unrolled: 1-line block ×6, first 2 shown]
	s_wait_kmcnt 0x0
	v_mad_co_u64_u32 v[56:57], null, s10, v116, 0
	s_wait_loadcnt 0x6
	v_mad_co_u64_u32 v[60:61], null, s8, v173, 0
	s_delay_alu instid0(VALU_DEP_2) | instskip(SKIP_1) | instid1(VALU_DEP_3)
	v_mov_b32_e32 v32, v57
	v_or_b32_e32 v66, 0x90, v173
	v_mov_b32_e32 v33, v61
	s_delay_alu instid0(VALU_DEP_2) | instskip(NEXT) | instid1(VALU_DEP_2)
	v_mad_co_u64_u32 v[62:63], null, s8, v66, 0
	v_mad_co_u64_u32 v[48:49], null, s11, v116, v[32:33]
	;; [unrolled: 1-line block ×3, first 2 shown]
	s_clause 0x3
	global_load_b128 v[32:35], v255, s[4:5] offset:1152
	global_load_b128 v[36:39], v255, s[4:5] offset:1296
	;; [unrolled: 1-line block ×4, first 2 shown]
	v_mov_b32_e32 v57, v48
	s_clause 0x1
	global_load_b128 v[48:51], v255, s[4:5] offset:1728
	global_load_b128 v[52:55], v255, s[4:5] offset:1872
	v_mov_b32_e32 v61, v58
	v_lshlrev_b64_e32 v[64:65], 4, v[56:57]
	global_load_b128 v[56:59], v255, s[4:5] offset:2304
	v_lshlrev_b64_e32 v[60:61], 4, v[60:61]
	v_mad_co_u64_u32 v[66:67], null, s9, v66, v[63:64]
	v_add_co_u32 v67, s2, s6, v64
	s_delay_alu instid0(VALU_DEP_1) | instskip(SKIP_1) | instid1(VALU_DEP_2)
	v_add_co_ci_u32_e64 v70, s2, s7, v65, s2
	s_mul_u64 s[6:7], s[8:9], 0x90
	v_add_co_u32 v64, s2, v67, v60
	s_wait_alu 0xf1ff
	s_delay_alu instid0(VALU_DEP_2)
	v_add_co_ci_u32_e64 v65, s2, v70, v61, s2
	v_mov_b32_e32 v63, v66
	s_wait_alu 0xfffe
	v_add_co_u32 v68, s2, v64, s6
	s_wait_alu 0xf1ff
	v_add_co_ci_u32_e64 v69, s2, s7, v65, s2
	v_lshlrev_b64_e32 v[60:61], 4, v[62:63]
	s_delay_alu instid0(VALU_DEP_3) | instskip(SKIP_1) | instid1(VALU_DEP_3)
	v_add_co_u32 v72, s2, v68, s6
	s_wait_alu 0xf1ff
	v_add_co_ci_u32_e64 v73, s2, s7, v69, s2
	s_delay_alu instid0(VALU_DEP_3)
	v_add_co_u32 v60, s2, v67, v60
	s_wait_alu 0xf1ff
	v_add_co_ci_u32_e64 v61, s2, v70, v61, s2
	v_add_co_u32 v76, s2, v72, s6
	s_wait_alu 0xf1ff
	v_add_co_ci_u32_e64 v77, s2, s7, v73, s2
	s_clause 0x2
	global_load_b128 v[60:63], v[60:61], off
	global_load_b128 v[64:67], v[64:65], off
	;; [unrolled: 1-line block ×3, first 2 shown]
	v_add_co_u32 v80, s2, v76, s6
	s_wait_alu 0xf1ff
	v_add_co_ci_u32_e64 v81, s2, s7, v77, s2
	s_clause 0x1
	global_load_b128 v[72:75], v[72:73], off
	global_load_b128 v[76:79], v[76:77], off
	v_add_co_u32 v84, s2, v80, s6
	s_wait_alu 0xf1ff
	v_add_co_ci_u32_e64 v85, s2, s7, v81, s2
	global_load_b128 v[80:83], v[80:81], off
	v_add_co_u32 v88, s2, v84, s6
	s_wait_alu 0xf1ff
	v_add_co_ci_u32_e64 v89, s2, s7, v85, s2
	;; [unrolled: 4-line block ×10, first 2 shown]
	s_delay_alu instid0(VALU_DEP_2) | instskip(SKIP_1) | instid1(VALU_DEP_2)
	v_add_co_u32 v133, s2, v121, s6
	s_wait_alu 0xf1ff
	v_add_co_ci_u32_e64 v134, s2, s7, v122, s2
	global_load_b128 v[117:120], v[117:118], off
	global_load_b128 v[121:124], v[121:122], off
	s_clause 0x1
	global_load_b128 v[125:128], v255, s[4:5] offset:2016
	global_load_b128 v[129:132], v255, s[4:5] offset:2160
	global_load_b128 v[133:136], v[133:134], off
	s_wait_loadcnt 0x11
	v_mul_f64_e32 v[137:138], v[66:67], v[2:3]
	v_mul_f64_e32 v[2:3], v[64:65], v[2:3]
	;; [unrolled: 1-line block ×4, first 2 shown]
	s_wait_loadcnt 0x10
	v_mul_f64_e32 v[141:142], v[70:71], v[6:7]
	v_mul_f64_e32 v[6:7], v[68:69], v[6:7]
	s_wait_loadcnt 0xf
	v_mul_f64_e32 v[143:144], v[74:75], v[10:11]
	v_mul_f64_e32 v[10:11], v[72:73], v[10:11]
	;; [unrolled: 3-line block ×9, first 2 shown]
	v_fma_f64 v[64:65], v[64:65], v[0:1], v[137:138]
	v_fma_f64 v[66:67], v[66:67], v[0:1], -v[2:3]
	v_fma_f64 v[0:1], v[60:61], v[56:57], v[139:140]
	v_fma_f64 v[2:3], v[62:63], v[56:57], -v[171:172]
	scratch_load_b32 v57, off, off offset:8 ; 4-byte Folded Reload
	s_wait_loadcnt 0x8
	v_mul_f64_e32 v[159:160], v[106:107], v[42:43]
	v_mul_f64_e32 v[42:43], v[104:105], v[42:43]
	v_fma_f64 v[58:59], v[68:69], v[4:5], v[141:142]
	s_wait_loadcnt 0x7
	v_mul_f64_e32 v[161:162], v[110:111], v[46:47]
	v_mul_f64_e32 v[46:47], v[108:109], v[46:47]
	v_fma_f64 v[60:61], v[70:71], v[4:5], -v[6:7]
	v_fma_f64 v[4:5], v[72:73], v[8:9], v[143:144]
	v_fma_f64 v[6:7], v[74:75], v[8:9], -v[10:11]
	s_wait_loadcnt 0x6
	v_mul_f64_e32 v[163:164], v[114:115], v[50:51]
	v_mul_f64_e32 v[50:51], v[112:113], v[50:51]
	v_fma_f64 v[8:9], v[76:77], v[12:13], v[145:146]
	v_fma_f64 v[10:11], v[78:79], v[12:13], -v[14:15]
	v_fma_f64 v[12:13], v[80:81], v[16:17], v[147:148]
	v_fma_f64 v[14:15], v[82:83], v[16:17], -v[18:19]
	s_wait_loadcnt 0x5
	v_mul_f64_e32 v[165:166], v[119:120], v[54:55]
	v_mul_f64_e32 v[54:55], v[117:118], v[54:55]
	s_wait_loadcnt 0x3
	v_mul_f64_e32 v[167:168], v[123:124], v[127:128]
	v_mul_f64_e32 v[127:128], v[121:122], v[127:128]
	;; [unrolled: 3-line block ×3, first 2 shown]
	v_fma_f64 v[16:17], v[84:85], v[20:21], v[149:150]
	v_fma_f64 v[18:19], v[86:87], v[20:21], -v[22:23]
	v_fma_f64 v[20:21], v[88:89], v[24:25], v[151:152]
	v_fma_f64 v[22:23], v[90:91], v[24:25], -v[26:27]
	;; [unrolled: 2-line block ×11, first 2 shown]
	s_wait_loadcnt 0x0
	v_lshl_add_u32 v56, v173, 4, v57
	v_add_nc_u32_e32 v57, v57, v255
	ds_store_b128 v56, v[64:67]
	ds_store_b128 v57, v[58:61] offset:144
	ds_store_b128 v57, v[4:7] offset:288
	;; [unrolled: 1-line block ×16, first 2 shown]
.LBB0_3:
	s_or_b32 exec_lo, exec_lo, s3
	s_clause 0x1
	s_load_b64 s[2:3], s[0:1], 0x20
	s_load_b64 s[6:7], s[0:1], 0x8
	global_wb scope:SCOPE_SE
	s_wait_storecnt_dscnt 0x0
	s_wait_kmcnt 0x0
	s_barrier_signal -1
	s_barrier_wait -1
	global_inv scope:SCOPE_SE
                                        ; implicit-def: $vgpr34_vgpr35
                                        ; implicit-def: $vgpr52_vgpr53
                                        ; implicit-def: $vgpr56_vgpr57
                                        ; implicit-def: $vgpr60_vgpr61
                                        ; implicit-def: $vgpr64_vgpr65
                                        ; implicit-def: $vgpr68_vgpr69
                                        ; implicit-def: $vgpr72_vgpr73
                                        ; implicit-def: $vgpr76_vgpr77
                                        ; implicit-def: $vgpr84_vgpr85
                                        ; implicit-def: $vgpr88_vgpr89
                                        ; implicit-def: $vgpr92_vgpr93
                                        ; implicit-def: $vgpr96_vgpr97
                                        ; implicit-def: $vgpr80_vgpr81
                                        ; implicit-def: $vgpr48_vgpr49
                                        ; implicit-def: $vgpr44_vgpr45
                                        ; implicit-def: $vgpr40_vgpr41
                                        ; implicit-def: $vgpr36_vgpr37
	s_and_saveexec_b32 s0, vcc_lo
	s_cbranch_execz .LBB0_5
; %bb.4:
	scratch_load_b32 v0, off, off offset:4  ; 4-byte Folded Reload
	s_wait_loadcnt 0x0
	v_lshl_add_u32 v0, v0, 4, v255
	ds_load_b128 v[32:35], v0
	ds_load_b128 v[52:55], v0 offset:144
	ds_load_b128 v[56:59], v0 offset:288
	;; [unrolled: 1-line block ×16, first 2 shown]
.LBB0_5:
	s_wait_alu 0xfffe
	s_or_b32 exec_lo, exec_lo, s0
	s_wait_dscnt 0x0
	v_add_f64_e64 v[28:29], v[54:55], -v[38:39]
	v_add_f64_e64 v[30:31], v[58:59], -v[42:43]
	s_mov_b32 s24, 0x5d8e7cdc
	s_mov_b32 s26, 0x2a9d6da3
	;; [unrolled: 1-line block ×4, first 2 shown]
	v_add_f64_e32 v[131:132], v[52:53], v[36:37]
	v_add_f64_e64 v[104:105], v[56:57], -v[40:41]
	s_mov_b32 s0, 0x370991
	s_mov_b32 s38, 0x4363dd80
	;; [unrolled: 1-line block ×6, first 2 shown]
	v_add_f64_e32 v[102:103], v[56:57], v[40:41]
	s_mov_b32 s8, 0x75d4884
	s_mov_b32 s9, 0x3fe7a5f6
	v_add_f64_e64 v[100:101], v[52:53], -v[36:37]
	v_add_f64_e32 v[163:164], v[54:55], v[38:39]
	v_add_f64_e32 v[106:107], v[58:59], v[42:43]
	v_add_f64_e64 v[108:109], v[62:63], -v[46:47]
	s_mov_b32 s34, 0x7c9e640b
	s_mov_b32 s35, 0xbfeca52d
	v_add_f64_e32 v[110:111], v[60:61], v[44:45]
	s_mov_b32 s10, 0x2b2883cd
	s_mov_b32 s28, 0xeb564b22
	;; [unrolled: 1-line block ×4, first 2 shown]
	v_add_f64_e64 v[112:113], v[60:61], -v[44:45]
	v_add_f64_e32 v[119:120], v[62:63], v[46:47]
	s_mov_b32 s36, 0x6c9a05f6
	s_mov_b32 s37, 0xbfe9895b
	v_add_f64_e64 v[237:238], v[66:67], -v[50:51]
	v_add_f64_e32 v[114:115], v[64:65], v[48:49]
	s_mov_b32 s14, 0x3259b75e
	s_mov_b32 s15, 0x3fb79ee6
	v_add_f64_e64 v[243:244], v[64:65], -v[48:49]
	v_add_f64_e32 v[127:128], v[66:67], v[50:51]
	v_mul_f64_e32 v[0:1], s[24:25], v[28:29]
	v_mul_f64_e32 v[2:3], s[26:27], v[30:31]
	;; [unrolled: 1-line block ×5, first 2 shown]
	v_add_f64_e64 v[245:246], v[70:71], -v[82:83]
	s_mov_b32 s30, 0x923c349f
	v_mul_f64_e32 v[4:5], s[26:27], v[104:105]
	v_mul_f64_e32 v[8:9], s[28:29], v[104:105]
	v_mul_f64_e32 v[12:13], s[36:37], v[104:105]
	s_mov_b32 s31, 0xbfeec746
	v_add_f64_e32 v[123:124], v[68:69], v[80:81]
	s_mov_b32 s16, 0xc61f0d01
	s_mov_b32 s40, 0xacd6c6b4
	;; [unrolled: 1-line block ×4, first 2 shown]
	v_add_f64_e64 v[249:250], v[68:69], -v[80:81]
	v_mul_f64_e32 v[14:15], s[40:41], v[30:31]
	v_add_f64_e32 v[139:140], v[70:71], v[82:83]
	s_mov_b32 s49, 0x3feec746
	s_mov_b32 s48, s30
	v_add_f64_e64 v[251:252], v[74:75], -v[98:99]
	v_mul_f64_e32 v[22:23], s[48:49], v[30:31]
	v_add_f64_e32 v[135:136], v[72:73], v[96:97]
	s_mov_b32 s18, 0x6ed5f1bb
	s_mov_b32 s19, 0xbfe348c8
	;; [unrolled: 5-line block ×4, first 2 shown]
	v_add_f64_e64 v[133:134], v[76:77], -v[92:93]
	v_mul_f64_e32 v[20:21], s[50:51], v[104:105]
	v_add_f64_e32 v[155:156], v[78:79], v[94:95]
	s_clause 0x2
	scratch_store_b64 off, v[2:3], off offset:20
	scratch_store_b64 off, v[0:1], off offset:108
	;; [unrolled: 1-line block ×3, first 2 shown]
	s_wait_alu 0xfffe
	v_fma_f64 v[0:1], v[131:132], s[0:1], v[0:1]
	v_fma_f64 v[2:3], v[102:103], s[8:9], v[2:3]
	v_add_f64_e64 v[137:138], v[86:87], -v[90:91]
	scratch_store_b64 off, v[4:5], off offset:36 ; 8-byte Folded Spill
	v_fma_f64 v[4:5], v[106:107], s[8:9], -v[4:5]
	v_add_f64_e32 v[151:152], v[84:85], v[88:89]
	s_mov_b32 s22, 0x7faef3
	s_mov_b32 s23, 0xbfef7484
	v_add_f64_e64 v[141:142], v[84:85], -v[88:89]
	v_mul_f64_e32 v[24:25], s[48:49], v[104:105]
	v_add_f64_e32 v[159:160], v[86:87], v[90:91]
	v_mul_f64_e32 v[171:172], s[26:27], v[28:29]
	v_mul_f64_e32 v[195:196], s[26:27], v[100:101]
	s_mov_b32 s45, 0x3fd71e95
	s_mov_b32 s44, s24
	v_mul_f64_e32 v[215:216], s[34:35], v[28:29]
	v_mul_f64_e32 v[217:218], s[34:35], v[100:101]
	s_mov_b32 s47, 0x3fc7851a
	s_mov_b32 s46, s40
	v_mul_f64_e32 v[219:220], s[28:29], v[28:29]
	v_mul_f64_e32 v[221:222], s[28:29], v[100:101]
	s_mov_b32 s53, 0x3fe9895b
	v_mul_f64_e32 v[157:158], s[24:25], v[125:126]
	v_mul_f64_e32 v[179:180], s[38:39], v[125:126]
	s_mov_b32 s52, s36
	v_mul_f64_e32 v[223:224], s[30:31], v[28:29]
	v_fma_f64 v[18:19], v[102:103], s[20:21], v[18:19]
	v_mul_f64_e32 v[225:226], s[30:31], v[100:101]
	v_mul_f64_e32 v[153:154], s[34:35], v[243:244]
	;; [unrolled: 1-line block ×11, first 2 shown]
	v_add_f64_e32 v[0:1], v[32:33], v[0:1]
	v_mul_f64_e32 v[181:182], s[40:41], v[133:134]
	v_mul_f64_e32 v[233:234], s[38:39], v[28:29]
	;; [unrolled: 1-line block ×19, first 2 shown]
	scratch_store_b64 off, v[6:7], off offset:188 ; 8-byte Folded Spill
	v_fma_f64 v[6:7], v[102:103], s[14:15], v[6:7]
	scratch_store_b64 off, v[8:9], off offset:204 ; 8-byte Folded Spill
	v_fma_f64 v[8:9], v[106:107], s[14:15], -v[8:9]
	scratch_store_b64 off, v[10:11], off offset:228 ; 8-byte Folded Spill
	v_fma_f64 v[10:11], v[102:103], s[18:19], v[10:11]
	scratch_store_b64 off, v[12:13], off offset:300 ; 8-byte Folded Spill
	v_fma_f64 v[12:13], v[106:107], s[18:19], -v[12:13]
	;; [unrolled: 4-line block ×3, first 2 shown]
	scratch_store_b64 off, v[20:21], off offset:468 ; 8-byte Folded Spill
	v_fma_f64 v[20:21], v[106:107], s[20:21], -v[20:21]
	scratch_store_b64 off, v[22:23], off offset:412 ; 8-byte Folded Spill
	v_fma_f64 v[22:23], v[102:103], s[16:17], v[22:23]
	scratch_store_b64 off, v[24:25], off offset:572 ; 8-byte Folded Spill
	v_fma_f64 v[24:25], v[106:107], s[16:17], -v[24:25]
	v_add_f64_e32 v[0:1], v[2:3], v[0:1]
	v_mul_f64_e32 v[2:3], s[24:25], v[100:101]
	scratch_store_b64 off, v[26:27], off offset:500 ; 8-byte Folded Spill
	v_fma_f64 v[26:27], v[102:103], s[10:11], v[26:27]
	v_fma_f64 v[117:118], v[106:107], s[10:11], -v[149:150]
	v_fma_f64 v[30:31], v[102:103], s[0:1], v[231:232]
	v_fma_f64 v[100:101], v[106:107], s[0:1], -v[239:240]
	scratch_store_b64 off, v[2:3], off offset:180 ; 8-byte Folded Spill
	v_fma_f64 v[2:3], v[163:164], s[0:1], -v[2:3]
	s_delay_alu instid0(VALU_DEP_1) | instskip(NEXT) | instid1(VALU_DEP_1)
	v_add_f64_e32 v[2:3], v[34:35], v[2:3]
	v_add_f64_e32 v[2:3], v[4:5], v[2:3]
	v_mul_f64_e32 v[4:5], s[34:35], v[108:109]
	scratch_store_b64 off, v[4:5], off offset:52 ; 8-byte Folded Spill
	v_fma_f64 v[4:5], v[110:111], s[10:11], v[4:5]
	s_delay_alu instid0(VALU_DEP_1) | instskip(SKIP_3) | instid1(VALU_DEP_1)
	v_add_f64_e32 v[0:1], v[4:5], v[0:1]
	v_mul_f64_e32 v[4:5], s[34:35], v[112:113]
	scratch_store_b64 off, v[4:5], off offset:84 ; 8-byte Folded Spill
	v_fma_f64 v[4:5], v[119:120], s[10:11], -v[4:5]
	v_add_f64_e32 v[2:3], v[4:5], v[2:3]
	v_mul_f64_e32 v[4:5], s[28:29], v[237:238]
	scratch_store_b64 off, v[4:5], off offset:68 ; 8-byte Folded Spill
	v_fma_f64 v[4:5], v[114:115], s[14:15], v[4:5]
	s_delay_alu instid0(VALU_DEP_1) | instskip(SKIP_3) | instid1(VALU_DEP_1)
	v_add_f64_e32 v[0:1], v[4:5], v[0:1]
	v_mul_f64_e32 v[4:5], s[28:29], v[243:244]
	scratch_store_b64 off, v[4:5], off offset:100 ; 8-byte Folded Spill
	v_fma_f64 v[4:5], v[127:128], s[14:15], -v[4:5]
	;; [unrolled: 9-line block ×6, first 2 shown]
	v_add_f64_e32 v[2:3], v[4:5], v[2:3]
	v_fma_f64 v[4:5], v[131:132], s[8:9], v[171:172]
	s_delay_alu instid0(VALU_DEP_1) | instskip(NEXT) | instid1(VALU_DEP_1)
	v_add_f64_e32 v[4:5], v[32:33], v[4:5]
	v_add_f64_e32 v[4:5], v[6:7], v[4:5]
	v_fma_f64 v[6:7], v[163:164], s[8:9], -v[195:196]
	s_delay_alu instid0(VALU_DEP_1) | instskip(NEXT) | instid1(VALU_DEP_1)
	v_add_f64_e32 v[6:7], v[34:35], v[6:7]
	v_add_f64_e32 v[6:7], v[8:9], v[6:7]
	v_mul_f64_e32 v[8:9], s[36:37], v[108:109]
	scratch_store_b64 off, v[8:9], off offset:196 ; 8-byte Folded Spill
	v_fma_f64 v[8:9], v[110:111], s[18:19], v[8:9]
	s_delay_alu instid0(VALU_DEP_1) | instskip(SKIP_3) | instid1(VALU_DEP_1)
	v_add_f64_e32 v[4:5], v[8:9], v[4:5]
	v_mul_f64_e32 v[8:9], s[36:37], v[112:113]
	scratch_store_b64 off, v[8:9], off offset:220 ; 8-byte Folded Spill
	v_fma_f64 v[8:9], v[119:120], s[18:19], -v[8:9]
	v_add_f64_e32 v[6:7], v[8:9], v[6:7]
	v_mul_f64_e32 v[8:9], s[40:41], v[237:238]
	scratch_store_b64 off, v[8:9], off offset:212 ; 8-byte Folded Spill
	v_fma_f64 v[8:9], v[114:115], s[22:23], v[8:9]
	s_delay_alu instid0(VALU_DEP_1) | instskip(SKIP_3) | instid1(VALU_DEP_1)
	v_add_f64_e32 v[4:5], v[8:9], v[4:5]
	v_mul_f64_e32 v[8:9], s[40:41], v[243:244]
	scratch_store_b64 off, v[8:9], off offset:252 ; 8-byte Folded Spill
	v_fma_f64 v[8:9], v[127:128], s[22:23], -v[8:9]
	;; [unrolled: 9-line block ×6, first 2 shown]
	v_add_f64_e32 v[6:7], v[8:9], v[6:7]
	v_fma_f64 v[8:9], v[131:132], s[10:11], v[215:216]
	s_delay_alu instid0(VALU_DEP_1) | instskip(NEXT) | instid1(VALU_DEP_1)
	v_add_f64_e32 v[8:9], v[32:33], v[8:9]
	v_add_f64_e32 v[8:9], v[10:11], v[8:9]
	v_fma_f64 v[10:11], v[163:164], s[10:11], -v[217:218]
	s_delay_alu instid0(VALU_DEP_1) | instskip(NEXT) | instid1(VALU_DEP_1)
	v_add_f64_e32 v[10:11], v[34:35], v[10:11]
	v_add_f64_e32 v[10:11], v[12:13], v[10:11]
	v_mul_f64_e32 v[12:13], s[46:47], v[108:109]
	scratch_store_b64 off, v[12:13], off offset:268 ; 8-byte Folded Spill
	v_fma_f64 v[12:13], v[110:111], s[22:23], v[12:13]
	s_delay_alu instid0(VALU_DEP_1)
	v_add_f64_e32 v[8:9], v[12:13], v[8:9]
	v_mul_f64_e32 v[12:13], s[46:47], v[112:113]
	s_mov_b32 s47, 0x3fe58eea
	s_mov_b32 s46, s26
	s_wait_alu 0xfffe
	v_mul_f64_e32 v[183:184], s[46:47], v[129:130]
	v_mul_f64_e32 v[199:200], s[46:47], v[133:134]
	;; [unrolled: 1-line block ×3, first 2 shown]
	scratch_store_b64 off, v[12:13], off offset:364 ; 8-byte Folded Spill
	v_fma_f64 v[12:13], v[119:120], s[22:23], -v[12:13]
	s_delay_alu instid0(VALU_DEP_1) | instskip(SKIP_3) | instid1(VALU_DEP_1)
	v_add_f64_e32 v[10:11], v[12:13], v[10:11]
	v_mul_f64_e32 v[12:13], s[48:49], v[237:238]
	scratch_store_b64 off, v[12:13], off offset:292 ; 8-byte Folded Spill
	v_fma_f64 v[12:13], v[114:115], s[16:17], v[12:13]
	v_add_f64_e32 v[8:9], v[12:13], v[8:9]
	v_mul_f64_e32 v[12:13], s[48:49], v[243:244]
	scratch_store_b64 off, v[12:13], off offset:436 ; 8-byte Folded Spill
	v_fma_f64 v[12:13], v[127:128], s[16:17], -v[12:13]
	s_delay_alu instid0(VALU_DEP_1) | instskip(SKIP_3) | instid1(VALU_DEP_1)
	v_add_f64_e32 v[10:11], v[12:13], v[10:11]
	v_mul_f64_e32 v[12:13], s[46:47], v[245:246]
	scratch_store_b64 off, v[12:13], off offset:396 ; 8-byte Folded Spill
	v_fma_f64 v[12:13], v[123:124], s[8:9], v[12:13]
	v_add_f64_e32 v[8:9], v[12:13], v[8:9]
	v_mul_f64_e32 v[12:13], s[46:47], v[249:250]
	scratch_store_b64 off, v[12:13], off offset:564 ; 8-byte Folded Spill
	v_fma_f64 v[12:13], v[139:140], s[8:9], -v[12:13]
	s_delay_alu instid0(VALU_DEP_1) | instskip(SKIP_3) | instid1(VALU_DEP_1)
	v_add_f64_e32 v[10:11], v[12:13], v[10:11]
	v_mul_f64_e32 v[12:13], s[24:25], v[251:252]
	scratch_store_b64 off, v[12:13], off offset:492 ; 8-byte Folded Spill
	v_fma_f64 v[12:13], v[135:136], s[0:1], v[12:13]
	v_add_f64_e32 v[8:9], v[12:13], v[8:9]
	v_fma_f64 v[12:13], v[147:148], s[0:1], -v[157:158]
	s_delay_alu instid0(VALU_DEP_1) | instskip(SKIP_3) | instid1(VALU_DEP_1)
	v_add_f64_e32 v[10:11], v[12:13], v[10:11]
	v_mul_f64_e32 v[12:13], s[28:29], v[129:130]
	scratch_store_b64 off, v[12:13], off offset:380 ; 8-byte Folded Spill
	v_fma_f64 v[12:13], v[143:144], s[14:15], v[12:13]
	v_add_f64_e32 v[8:9], v[12:13], v[8:9]
	v_mul_f64_e32 v[12:13], s[28:29], v[133:134]
	scratch_store_b64 off, v[12:13], off offset:444 ; 8-byte Folded Spill
	v_fma_f64 v[12:13], v[155:156], s[14:15], -v[12:13]
	s_delay_alu instid0(VALU_DEP_1) | instskip(SKIP_3) | instid1(VALU_DEP_1)
	v_add_f64_e32 v[10:11], v[12:13], v[10:11]
	v_mul_f64_e32 v[12:13], s[38:39], v[137:138]
	scratch_store_b64 off, v[12:13], off offset:356 ; 8-byte Folded Spill
	v_fma_f64 v[12:13], v[151:152], s[20:21], v[12:13]
	v_add_f64_e32 v[8:9], v[12:13], v[8:9]
	v_mul_f64_e32 v[12:13], s[38:39], v[141:142]
	scratch_store_b64 off, v[12:13], off offset:428 ; 8-byte Folded Spill
	v_fma_f64 v[12:13], v[159:160], s[20:21], -v[12:13]
	s_delay_alu instid0(VALU_DEP_1) | instskip(SKIP_1) | instid1(VALU_DEP_1)
	v_add_f64_e32 v[10:11], v[12:13], v[10:11]
	v_fma_f64 v[12:13], v[131:132], s[14:15], v[219:220]
	v_add_f64_e32 v[12:13], v[32:33], v[12:13]
	s_delay_alu instid0(VALU_DEP_1) | instskip(SKIP_1) | instid1(VALU_DEP_1)
	v_add_f64_e32 v[12:13], v[14:15], v[12:13]
	v_fma_f64 v[14:15], v[163:164], s[14:15], -v[221:222]
	v_add_f64_e32 v[14:15], v[34:35], v[14:15]
	s_delay_alu instid0(VALU_DEP_1) | instskip(SKIP_3) | instid1(VALU_DEP_1)
	v_add_f64_e32 v[14:15], v[16:17], v[14:15]
	v_mul_f64_e32 v[16:17], s[48:49], v[108:109]
	scratch_store_b64 off, v[16:17], off offset:332 ; 8-byte Folded Spill
	v_fma_f64 v[16:17], v[110:111], s[16:17], v[16:17]
	v_add_f64_e32 v[12:13], v[16:17], v[12:13]
	v_mul_f64_e32 v[16:17], s[48:49], v[112:113]
	scratch_store_b64 off, v[16:17], off offset:460 ; 8-byte Folded Spill
	v_fma_f64 v[16:17], v[119:120], s[16:17], -v[16:17]
	s_delay_alu instid0(VALU_DEP_1) | instskip(SKIP_3) | instid1(VALU_DEP_1)
	v_add_f64_e32 v[14:15], v[16:17], v[14:15]
	v_mul_f64_e32 v[16:17], s[44:45], v[237:238]
	scratch_store_b64 off, v[16:17], off offset:348 ; 8-byte Folded Spill
	v_fma_f64 v[16:17], v[114:115], s[0:1], v[16:17]
	v_add_f64_e32 v[12:13], v[16:17], v[12:13]
	v_mul_f64_e32 v[16:17], s[44:45], v[243:244]
	scratch_store_b64 off, v[16:17], off offset:532 ; 8-byte Folded Spill
	v_fma_f64 v[16:17], v[127:128], s[0:1], -v[16:17]
	;; [unrolled: 9-line block ×3, first 2 shown]
	s_delay_alu instid0(VALU_DEP_1) | instskip(SKIP_3) | instid1(VALU_DEP_1)
	v_add_f64_e32 v[14:15], v[16:17], v[14:15]
	v_mul_f64_e32 v[16:17], s[38:39], v[251:252]
	scratch_store_b64 off, v[16:17], off offset:588 ; 8-byte Folded Spill
	v_fma_f64 v[16:17], v[135:136], s[20:21], v[16:17]
	v_add_f64_e32 v[12:13], v[16:17], v[12:13]
	v_fma_f64 v[16:17], v[147:148], s[20:21], -v[179:180]
	s_delay_alu instid0(VALU_DEP_1) | instskip(SKIP_3) | instid1(VALU_DEP_1)
	v_add_f64_e32 v[14:15], v[16:17], v[14:15]
	v_mul_f64_e32 v[16:17], s[52:53], v[129:130]
	scratch_store_b64 off, v[16:17], off offset:476 ; 8-byte Folded Spill
	v_fma_f64 v[16:17], v[143:144], s[18:19], v[16:17]
	v_add_f64_e32 v[12:13], v[16:17], v[12:13]
	v_mul_f64_e32 v[16:17], s[52:53], v[133:134]
	scratch_store_b64 off, v[16:17], off offset:540 ; 8-byte Folded Spill
	v_fma_f64 v[16:17], v[155:156], s[18:19], -v[16:17]
	s_delay_alu instid0(VALU_DEP_1) | instskip(SKIP_3) | instid1(VALU_DEP_1)
	v_add_f64_e32 v[14:15], v[16:17], v[14:15]
	v_mul_f64_e32 v[16:17], s[46:47], v[137:138]
	scratch_store_b64 off, v[16:17], off offset:452 ; 8-byte Folded Spill
	v_fma_f64 v[16:17], v[151:152], s[8:9], v[16:17]
	v_add_f64_e32 v[12:13], v[16:17], v[12:13]
	v_mul_f64_e32 v[16:17], s[46:47], v[141:142]
	scratch_store_b64 off, v[16:17], off offset:524 ; 8-byte Folded Spill
	v_fma_f64 v[16:17], v[159:160], s[8:9], -v[16:17]
	s_delay_alu instid0(VALU_DEP_1) | instskip(SKIP_1) | instid1(VALU_DEP_1)
	v_add_f64_e32 v[14:15], v[16:17], v[14:15]
	v_fma_f64 v[16:17], v[131:132], s[16:17], v[223:224]
	v_add_f64_e32 v[16:17], v[32:33], v[16:17]
	s_delay_alu instid0(VALU_DEP_1) | instskip(SKIP_1) | instid1(VALU_DEP_1)
	v_add_f64_e32 v[16:17], v[18:19], v[16:17]
	v_fma_f64 v[18:19], v[163:164], s[16:17], -v[225:226]
	v_add_f64_e32 v[18:19], v[34:35], v[18:19]
	s_delay_alu instid0(VALU_DEP_1) | instskip(SKIP_3) | instid1(VALU_DEP_1)
	v_add_f64_e32 v[18:19], v[20:21], v[18:19]
	v_mul_f64_e32 v[20:21], s[46:47], v[108:109]
	scratch_store_b64 off, v[20:21], off offset:388 ; 8-byte Folded Spill
	v_fma_f64 v[20:21], v[110:111], s[8:9], v[20:21]
	v_add_f64_e32 v[16:17], v[20:21], v[16:17]
	v_mul_f64_e32 v[20:21], s[46:47], v[112:113]
	scratch_store_b64 off, v[20:21], off offset:556 ; 8-byte Folded Spill
	v_fma_f64 v[20:21], v[119:120], s[8:9], -v[20:21]
	s_delay_alu instid0(VALU_DEP_1)
	v_add_f64_e32 v[18:19], v[20:21], v[18:19]
	v_mul_f64_e32 v[20:21], s[34:35], v[237:238]
	s_mov_b32 s35, 0x3fefdd0d
	s_mov_b32 s34, s28
	s_wait_alu 0xfffe
	v_mul_f64_e32 v[173:174], s[34:35], v[251:252]
	v_mul_f64_e32 v[205:206], s[34:35], v[125:126]
	;; [unrolled: 1-line block ×5, first 2 shown]
	scratch_store_b64 off, v[20:21], off offset:420 ; 8-byte Folded Spill
	v_fma_f64 v[20:21], v[114:115], s[10:11], v[20:21]
	s_delay_alu instid0(VALU_DEP_1) | instskip(SKIP_1) | instid1(VALU_DEP_1)
	v_add_f64_e32 v[16:17], v[20:21], v[16:17]
	v_fma_f64 v[20:21], v[127:128], s[10:11], -v[153:154]
	v_add_f64_e32 v[18:19], v[20:21], v[18:19]
	v_mul_f64_e32 v[20:21], s[40:41], v[245:246]
	scratch_store_b64 off, v[20:21], off offset:604 ; 8-byte Folded Spill
	v_fma_f64 v[20:21], v[123:124], s[22:23], v[20:21]
	s_delay_alu instid0(VALU_DEP_1) | instskip(SKIP_1) | instid1(VALU_DEP_1)
	v_add_f64_e32 v[16:17], v[20:21], v[16:17]
	v_fma_f64 v[20:21], v[139:140], s[22:23], -v[187:188]
	v_add_f64_e32 v[18:19], v[20:21], v[18:19]
	v_fma_f64 v[20:21], v[135:136], s[14:15], v[173:174]
	s_delay_alu instid0(VALU_DEP_1) | instskip(SKIP_1) | instid1(VALU_DEP_1)
	v_add_f64_e32 v[16:17], v[20:21], v[16:17]
	v_fma_f64 v[20:21], v[147:148], s[14:15], -v[205:206]
	v_add_f64_e32 v[18:19], v[20:21], v[18:19]
	v_mul_f64_e32 v[20:21], s[24:25], v[129:130]
	scratch_store_b64 off, v[20:21], off offset:580 ; 8-byte Folded Spill
	v_fma_f64 v[20:21], v[143:144], s[0:1], v[20:21]
	s_delay_alu instid0(VALU_DEP_1) | instskip(SKIP_1) | instid1(VALU_DEP_1)
	v_add_f64_e32 v[16:17], v[20:21], v[16:17]
	v_fma_f64 v[20:21], v[155:156], s[0:1], -v[161:162]
	v_add_f64_e32 v[18:19], v[20:21], v[18:19]
	v_mul_f64_e32 v[20:21], s[36:37], v[137:138]
	scratch_store_b64 off, v[20:21], off offset:548 ; 8-byte Folded Spill
	v_fma_f64 v[20:21], v[151:152], s[18:19], v[20:21]
	s_delay_alu instid0(VALU_DEP_1) | instskip(SKIP_1) | instid1(VALU_DEP_1)
	v_add_f64_e32 v[16:17], v[20:21], v[16:17]
	v_fma_f64 v[20:21], v[159:160], s[18:19], -v[145:146]
	v_add_f64_e32 v[18:19], v[20:21], v[18:19]
	v_fma_f64 v[20:21], v[131:132], s[18:19], v[227:228]
	s_delay_alu instid0(VALU_DEP_1) | instskip(NEXT) | instid1(VALU_DEP_1)
	v_add_f64_e32 v[20:21], v[32:33], v[20:21]
	v_add_f64_e32 v[20:21], v[22:23], v[20:21]
	v_fma_f64 v[22:23], v[163:164], s[18:19], -v[229:230]
	s_delay_alu instid0(VALU_DEP_1) | instskip(NEXT) | instid1(VALU_DEP_1)
	v_add_f64_e32 v[22:23], v[34:35], v[22:23]
	v_add_f64_e32 v[22:23], v[24:25], v[22:23]
	v_mul_f64_e32 v[24:25], s[24:25], v[108:109]
	scratch_store_b64 off, v[24:25], off offset:508 ; 8-byte Folded Spill
	v_fma_f64 v[24:25], v[110:111], s[0:1], v[24:25]
	s_delay_alu instid0(VALU_DEP_1) | instskip(SKIP_1) | instid1(VALU_DEP_1)
	v_add_f64_e32 v[20:21], v[24:25], v[20:21]
	v_fma_f64 v[24:25], v[119:120], s[0:1], -v[167:168]
	v_add_f64_e32 v[22:23], v[24:25], v[22:23]
	v_mul_f64_e32 v[24:25], s[38:39], v[237:238]
	scratch_store_b64 off, v[24:25], off offset:516 ; 8-byte Folded Spill
	v_fma_f64 v[24:25], v[114:115], s[20:21], v[24:25]
	s_delay_alu instid0(VALU_DEP_1) | instskip(SKIP_1) | instid1(VALU_DEP_1)
	v_add_f64_e32 v[20:21], v[24:25], v[20:21]
	v_fma_f64 v[24:25], v[127:128], s[20:21], -v[189:190]
	v_add_f64_e32 v[22:23], v[24:25], v[22:23]
	v_fma_f64 v[24:25], v[123:124], s[14:15], v[169:170]
	s_delay_alu instid0(VALU_DEP_1) | instskip(SKIP_1) | instid1(VALU_DEP_1)
	v_add_f64_e32 v[20:21], v[24:25], v[20:21]
	v_fma_f64 v[24:25], v[139:140], s[14:15], -v[203:204]
	v_add_f64_e32 v[22:23], v[24:25], v[22:23]
	;; [unrolled: 5-line block ×4, first 2 shown]
	v_mul_f64_e32 v[24:25], s[42:43], v[137:138]
	scratch_store_b64 off, v[24:25], off offset:620 ; 8-byte Folded Spill
	v_fma_f64 v[24:25], v[151:152], s[10:11], v[24:25]
	s_delay_alu instid0(VALU_DEP_1) | instskip(SKIP_1) | instid1(VALU_DEP_1)
	v_add_f64_e32 v[20:21], v[24:25], v[20:21]
	v_fma_f64 v[24:25], v[159:160], s[10:11], -v[177:178]
	v_add_f64_e32 v[22:23], v[24:25], v[22:23]
	v_fma_f64 v[24:25], v[131:132], s[20:21], v[233:234]
	s_delay_alu instid0(VALU_DEP_1) | instskip(NEXT) | instid1(VALU_DEP_1)
	v_add_f64_e32 v[24:25], v[32:33], v[24:25]
	v_add_f64_e32 v[24:25], v[26:27], v[24:25]
	v_fma_f64 v[26:27], v[163:164], s[20:21], -v[241:242]
	s_delay_alu instid0(VALU_DEP_1) | instskip(NEXT) | instid1(VALU_DEP_1)
	v_add_f64_e32 v[26:27], v[34:35], v[26:27]
	v_add_f64_e32 v[26:27], v[117:118], v[26:27]
	v_mul_f64_e32 v[117:118], s[28:29], v[108:109]
	v_mul_f64_e32 v[108:109], s[36:37], v[249:250]
	;; [unrolled: 1-line block ×3, first 2 shown]
	scratch_store_b64 off, v[117:118], off offset:596 ; 8-byte Folded Spill
	v_fma_f64 v[117:118], v[110:111], s[14:15], v[117:118]
	s_delay_alu instid0(VALU_DEP_1) | instskip(SKIP_1) | instid1(VALU_DEP_1)
	v_add_f64_e32 v[24:25], v[117:118], v[24:25]
	v_fma_f64 v[117:118], v[119:120], s[14:15], -v[185:186]
	v_add_f64_e32 v[26:27], v[117:118], v[26:27]
	v_mul_f64_e32 v[117:118], s[52:53], v[237:238]
	v_mul_f64_e32 v[237:238], s[46:47], v[237:238]
	scratch_store_b64 off, v[117:118], off offset:612 ; 8-byte Folded Spill
	v_fma_f64 v[117:118], v[114:115], s[18:19], v[117:118]
	global_wb scope:SCOPE_SE
	s_wait_storecnt 0x0
	s_barrier_signal -1
	s_barrier_wait -1
	global_inv scope:SCOPE_SE
	v_add_f64_e32 v[24:25], v[117:118], v[24:25]
	v_fma_f64 v[117:118], v[127:128], s[18:19], -v[201:202]
	s_delay_alu instid0(VALU_DEP_1) | instskip(SKIP_1) | instid1(VALU_DEP_1)
	v_add_f64_e32 v[26:27], v[117:118], v[26:27]
	v_fma_f64 v[117:118], v[123:124], s[0:1], v[191:192]
	v_add_f64_e32 v[24:25], v[117:118], v[24:25]
	v_fma_f64 v[117:118], v[139:140], s[0:1], -v[209:210]
	s_delay_alu instid0(VALU_DEP_1) | instskip(SKIP_1) | instid1(VALU_DEP_1)
	v_add_f64_e32 v[26:27], v[117:118], v[26:27]
	v_fma_f64 v[117:118], v[135:136], s[22:23], v[207:208]
	v_add_f64_e32 v[24:25], v[117:118], v[24:25]
	v_fma_f64 v[117:118], v[147:148], s[22:23], -v[213:214]
	s_delay_alu instid0(VALU_DEP_1) | instskip(SKIP_1) | instid1(VALU_DEP_1)
	v_add_f64_e32 v[26:27], v[117:118], v[26:27]
	v_fma_f64 v[117:118], v[143:144], s[8:9], v[183:184]
	v_add_f64_e32 v[24:25], v[117:118], v[24:25]
	v_fma_f64 v[117:118], v[155:156], s[8:9], -v[199:200]
	s_delay_alu instid0(VALU_DEP_1) | instskip(SKIP_1) | instid1(VALU_DEP_1)
	v_add_f64_e32 v[26:27], v[117:118], v[26:27]
	v_fma_f64 v[117:118], v[151:152], s[16:17], v[175:176]
	v_add_f64_e32 v[24:25], v[117:118], v[24:25]
	v_fma_f64 v[117:118], v[159:160], s[16:17], -v[197:198]
	s_delay_alu instid0(VALU_DEP_1) | instskip(SKIP_1) | instid1(VALU_DEP_1)
	v_add_f64_e32 v[26:27], v[117:118], v[26:27]
	v_mul_f64_e32 v[117:118], s[40:41], v[28:29]
	v_fma_f64 v[28:29], v[131:132], s[22:23], v[117:118]
	s_delay_alu instid0(VALU_DEP_1) | instskip(NEXT) | instid1(VALU_DEP_1)
	v_add_f64_e32 v[28:29], v[32:33], v[28:29]
	v_add_f64_e32 v[28:29], v[30:31], v[28:29]
	v_fma_f64 v[30:31], v[163:164], s[22:23], -v[121:122]
	s_delay_alu instid0(VALU_DEP_1) | instskip(NEXT) | instid1(VALU_DEP_1)
	v_add_f64_e32 v[30:31], v[34:35], v[30:31]
	v_add_f64_e32 v[30:31], v[100:101], v[30:31]
	v_fma_f64 v[100:101], v[110:111], s[20:21], v[235:236]
	s_delay_alu instid0(VALU_DEP_1) | instskip(SKIP_1) | instid1(VALU_DEP_1)
	v_add_f64_e32 v[28:29], v[100:101], v[28:29]
	v_fma_f64 v[100:101], v[119:120], s[20:21], -v[247:248]
	v_add_f64_e32 v[30:31], v[100:101], v[30:31]
	v_fma_f64 v[100:101], v[114:115], s[8:9], v[237:238]
	s_delay_alu instid0(VALU_DEP_1) | instskip(SKIP_1) | instid1(VALU_DEP_1)
	v_add_f64_e32 v[28:29], v[100:101], v[28:29]
	v_fma_f64 v[100:101], v[127:128], s[8:9], -v[253:254]
	v_add_f64_e32 v[30:31], v[100:101], v[30:31]
	v_mul_f64_e32 v[100:101], s[36:37], v[245:246]
	v_mul_f64_e32 v[245:246], s[30:31], v[129:130]
	s_delay_alu instid0(VALU_DEP_2) | instskip(NEXT) | instid1(VALU_DEP_1)
	v_fma_f64 v[104:105], v[123:124], s[18:19], v[100:101]
	v_add_f64_e32 v[28:29], v[104:105], v[28:29]
	v_fma_f64 v[104:105], v[139:140], s[18:19], -v[108:109]
	s_delay_alu instid0(VALU_DEP_1) | instskip(SKIP_2) | instid1(VALU_DEP_2)
	v_add_f64_e32 v[30:31], v[104:105], v[30:31]
	v_mul_f64_e32 v[104:105], s[42:43], v[251:252]
	v_mul_f64_e32 v[251:252], s[30:31], v[133:134]
	v_fma_f64 v[112:113], v[135:136], s[10:11], v[104:105]
	s_delay_alu instid0(VALU_DEP_1) | instskip(SKIP_1) | instid1(VALU_DEP_1)
	v_add_f64_e32 v[28:29], v[112:113], v[28:29]
	v_mul_f64_e32 v[112:113], s[42:43], v[125:126]
	v_fma_f64 v[125:126], v[147:148], s[10:11], -v[112:113]
	s_delay_alu instid0(VALU_DEP_1) | instskip(SKIP_1) | instid1(VALU_DEP_1)
	v_add_f64_e32 v[30:31], v[125:126], v[30:31]
	v_fma_f64 v[125:126], v[143:144], s[16:17], v[245:246]
	v_add_f64_e32 v[28:29], v[125:126], v[28:29]
	v_fma_f64 v[125:126], v[155:156], s[16:17], -v[251:252]
	s_delay_alu instid0(VALU_DEP_1) | instskip(SKIP_1) | instid1(VALU_DEP_1)
	v_add_f64_e32 v[30:31], v[125:126], v[30:31]
	v_fma_f64 v[125:126], v[151:152], s[14:15], v[243:244]
	v_add_f64_e32 v[28:29], v[125:126], v[28:29]
	v_fma_f64 v[125:126], v[159:160], s[14:15], -v[249:250]
	s_delay_alu instid0(VALU_DEP_1)
	v_add_f64_e32 v[30:31], v[125:126], v[30:31]
	scratch_load_b32 v125, off, off         ; 4-byte Folded Reload
	s_wait_loadcnt 0x0
	v_mul_lo_u16 v125, v125, 17
	scratch_store_b32 off, v125, off offset:12 ; 4-byte Folded Spill
	s_and_saveexec_b32 s24, vcc_lo
	s_cbranch_execz .LBB0_7
; %bb.6:
	v_add_f64_e32 v[54:55], v[34:35], v[54:55]
	v_add_f64_e32 v[52:53], v[32:33], v[52:53]
	s_delay_alu instid0(VALU_DEP_2) | instskip(NEXT) | instid1(VALU_DEP_2)
	v_add_f64_e32 v[54:55], v[54:55], v[58:59]
	v_add_f64_e32 v[52:53], v[52:53], v[56:57]
	v_mul_f64_e32 v[56:57], s[14:15], v[163:164]
	v_mul_f64_e32 v[58:59], s[14:15], v[131:132]
	s_delay_alu instid0(VALU_DEP_4) | instskip(NEXT) | instid1(VALU_DEP_4)
	v_add_f64_e32 v[54:55], v[54:55], v[62:63]
	v_add_f64_e32 v[52:53], v[52:53], v[60:61]
	s_delay_alu instid0(VALU_DEP_4)
	v_add_f64_e32 v[56:57], v[221:222], v[56:57]
	v_mul_f64_e32 v[62:63], s[10:11], v[131:132]
	v_mul_f64_e32 v[60:61], s[10:11], v[163:164]
	v_add_f64_e64 v[58:59], v[58:59], -v[219:220]
	v_add_f64_e32 v[54:55], v[54:55], v[66:67]
	v_add_f64_e32 v[52:53], v[52:53], v[64:65]
	v_mul_f64_e32 v[64:65], s[8:9], v[163:164]
	v_add_f64_e64 v[62:63], v[62:63], -v[215:216]
	v_add_f64_e32 v[60:61], v[217:218], v[60:61]
	v_mul_f64_e32 v[66:67], s[8:9], v[131:132]
	v_add_f64_e32 v[54:55], v[54:55], v[70:71]
	v_add_f64_e32 v[52:53], v[52:53], v[68:69]
	scratch_load_b64 v[70:71], off, off offset:180 th:TH_LOAD_LU ; 8-byte Folded Reload
	v_mul_f64_e32 v[68:69], s[0:1], v[163:164]
	v_add_f64_e32 v[64:65], v[195:196], v[64:65]
	v_add_f64_e64 v[66:67], v[66:67], -v[171:172]
	v_add_f64_e32 v[54:55], v[54:55], v[74:75]
	v_add_f64_e32 v[52:53], v[52:53], v[72:73]
	s_delay_alu instid0(VALU_DEP_2) | instskip(NEXT) | instid1(VALU_DEP_2)
	v_add_f64_e32 v[54:55], v[54:55], v[78:79]
	v_add_f64_e32 v[52:53], v[52:53], v[76:77]
	s_delay_alu instid0(VALU_DEP_2) | instskip(NEXT) | instid1(VALU_DEP_2)
	v_add_f64_e32 v[54:55], v[54:55], v[86:87]
	v_add_f64_e32 v[52:53], v[52:53], v[84:85]
	v_mul_f64_e32 v[84:85], s[20:21], v[110:111]
	scratch_load_b64 v[86:87], off, off offset:196 th:TH_LOAD_LU ; 8-byte Folded Reload
	v_add_f64_e32 v[54:55], v[54:55], v[90:91]
	v_add_f64_e32 v[52:53], v[52:53], v[88:89]
	v_add_f64_e64 v[84:85], v[84:85], -v[235:236]
	s_delay_alu instid0(VALU_DEP_3) | instskip(NEXT) | instid1(VALU_DEP_3)
	v_add_f64_e32 v[54:55], v[54:55], v[94:95]
	v_add_f64_e32 v[52:53], v[52:53], v[92:93]
	s_delay_alu instid0(VALU_DEP_2) | instskip(NEXT) | instid1(VALU_DEP_2)
	v_add_f64_e32 v[54:55], v[54:55], v[98:99]
	v_add_f64_e32 v[52:53], v[52:53], v[96:97]
	s_delay_alu instid0(VALU_DEP_2) | instskip(SKIP_1) | instid1(VALU_DEP_3)
	v_add_f64_e32 v[54:55], v[54:55], v[82:83]
	v_mul_f64_e32 v[82:83], s[0:1], v[102:103]
	v_add_f64_e32 v[52:53], v[52:53], v[80:81]
	v_mul_f64_e32 v[80:81], s[18:19], v[123:124]
	s_delay_alu instid0(VALU_DEP_4) | instskip(NEXT) | instid1(VALU_DEP_4)
	v_add_f64_e32 v[50:51], v[54:55], v[50:51]
	v_add_f64_e64 v[82:83], v[82:83], -v[231:232]
	s_delay_alu instid0(VALU_DEP_4)
	v_add_f64_e32 v[48:49], v[52:53], v[48:49]
	v_mul_f64_e32 v[52:53], s[16:17], v[163:164]
	v_mul_f64_e32 v[54:55], s[16:17], v[131:132]
	v_add_f64_e64 v[80:81], v[80:81], -v[100:101]
	v_add_f64_e32 v[46:47], v[50:51], v[46:47]
	v_mul_f64_e32 v[50:51], s[18:19], v[131:132]
	v_add_f64_e32 v[44:45], v[48:49], v[44:45]
	v_mul_f64_e32 v[48:49], s[18:19], v[163:164]
	v_add_f64_e32 v[52:53], v[225:226], v[52:53]
	v_add_f64_e64 v[54:55], v[54:55], -v[223:224]
	v_add_f64_e32 v[42:43], v[46:47], v[42:43]
	v_mul_f64_e32 v[46:47], s[20:21], v[131:132]
	v_add_f64_e32 v[40:41], v[44:45], v[40:41]
	v_add_f64_e32 v[48:49], v[229:230], v[48:49]
	v_mul_f64_e32 v[44:45], s[20:21], v[163:164]
	v_add_f64_e64 v[50:51], v[50:51], -v[227:228]
	v_add_f64_e32 v[52:53], v[34:35], v[52:53]
	v_add_f64_e32 v[54:55], v[32:33], v[54:55]
	;; [unrolled: 1-line block ×3, first 2 shown]
	v_mul_f64_e32 v[42:43], s[22:23], v[131:132]
	v_add_f64_e32 v[36:37], v[40:41], v[36:37]
	v_mul_f64_e32 v[40:41], s[22:23], v[163:164]
	v_add_f64_e64 v[46:47], v[46:47], -v[233:234]
	v_add_f64_e32 v[76:77], v[34:35], v[48:49]
	v_add_f64_e32 v[48:49], v[34:35], v[56:57]
	;; [unrolled: 1-line block ×7, first 2 shown]
	v_add_f64_e64 v[42:43], v[42:43], -v[117:118]
	v_add_f64_e32 v[40:41], v[121:122], v[40:41]
	v_add_f64_e32 v[74:75], v[32:33], v[46:47]
	;; [unrolled: 1-line block ×3, first 2 shown]
	v_mul_f64_e32 v[62:63], s[20:21], v[119:120]
	v_add_f64_e32 v[42:43], v[32:33], v[42:43]
	v_add_f64_e32 v[40:41], v[34:35], v[40:41]
	s_delay_alu instid0(VALU_DEP_3) | instskip(NEXT) | instid1(VALU_DEP_3)
	v_add_f64_e32 v[62:63], v[247:248], v[62:63]
	v_add_f64_e32 v[42:43], v[82:83], v[42:43]
	s_delay_alu instid0(VALU_DEP_1)
	v_add_f64_e32 v[42:43], v[84:85], v[42:43]
	s_clause 0x1
	scratch_load_b64 v[84:85], off, off offset:188 th:TH_LOAD_LU
	scratch_load_b64 v[72:73], off, off offset:108 th:TH_LOAD_LU
	s_wait_loadcnt 0x3
	v_add_f64_e32 v[68:69], v[70:71], v[68:69]
	v_mul_f64_e32 v[70:71], s[0:1], v[131:132]
	s_delay_alu instid0(VALU_DEP_2) | instskip(SKIP_1) | instid1(VALU_DEP_1)
	v_add_f64_e32 v[64:65], v[34:35], v[68:69]
	v_mul_f64_e32 v[68:69], s[0:1], v[106:107]
	v_add_f64_e32 v[68:69], v[239:240], v[68:69]
	s_delay_alu instid0(VALU_DEP_1) | instskip(SKIP_1) | instid1(VALU_DEP_2)
	v_add_f64_e32 v[40:41], v[68:69], v[40:41]
	v_mul_f64_e32 v[68:69], s[8:9], v[114:115]
	v_add_f64_e32 v[40:41], v[62:63], v[40:41]
	s_delay_alu instid0(VALU_DEP_2) | instskip(SKIP_1) | instid1(VALU_DEP_2)
	v_add_f64_e64 v[68:69], v[68:69], -v[237:238]
	v_mul_f64_e32 v[62:63], s[16:17], v[155:156]
	v_add_f64_e32 v[42:43], v[68:69], v[42:43]
	s_delay_alu instid0(VALU_DEP_2)
	v_add_f64_e32 v[62:63], v[251:252], v[62:63]
	scratch_load_b64 v[68:69], off, off offset:220 th:TH_LOAD_LU ; 8-byte Folded Reload
	s_wait_loadcnt 0x1
	v_add_f64_e64 v[70:71], v[70:71], -v[72:73]
	v_add_f64_e32 v[72:73], v[34:35], v[44:45]
	v_add_f64_e32 v[44:45], v[34:35], v[60:61]
	v_mul_f64_e32 v[60:61], s[8:9], v[127:128]
	v_mul_f64_e32 v[34:35], s[18:19], v[139:140]
	v_add_f64_e32 v[66:67], v[32:33], v[70:71]
	v_mul_f64_e32 v[32:33], s[10:11], v[147:148]
	v_mul_f64_e32 v[70:71], s[10:11], v[135:136]
	v_add_f64_e32 v[60:61], v[253:254], v[60:61]
	v_add_f64_e32 v[34:35], v[108:109], v[34:35]
	s_delay_alu instid0(VALU_DEP_4) | instskip(NEXT) | instid1(VALU_DEP_4)
	v_add_f64_e32 v[32:33], v[112:113], v[32:33]
	v_add_f64_e64 v[70:71], v[70:71], -v[104:105]
	s_delay_alu instid0(VALU_DEP_4) | instskip(SKIP_1) | instid1(VALU_DEP_2)
	v_add_f64_e32 v[40:41], v[60:61], v[40:41]
	v_mul_f64_e32 v[60:61], s[16:17], v[143:144]
	v_add_f64_e32 v[34:35], v[34:35], v[40:41]
	v_add_f64_e32 v[40:41], v[80:81], v[42:43]
	scratch_load_b64 v[80:81], off, off offset:244 th:TH_LOAD_LU ; 8-byte Folded Reload
	v_mul_f64_e32 v[42:43], s[14:15], v[159:160]
	v_add_f64_e64 v[60:61], v[60:61], -v[245:246]
	scratch_load_b64 v[82:83], off, off offset:212 th:TH_LOAD_LU ; 8-byte Folded Reload
	v_add_f64_e32 v[32:33], v[32:33], v[34:35]
	v_add_f64_e32 v[34:35], v[70:71], v[40:41]
	v_mul_f64_e32 v[40:41], s[14:15], v[151:152]
	v_add_f64_e32 v[42:43], v[249:250], v[42:43]
	scratch_load_b64 v[70:71], off, off offset:204 th:TH_LOAD_LU ; 8-byte Folded Reload
	v_add_f64_e32 v[32:33], v[62:63], v[32:33]
	v_add_f64_e32 v[60:61], v[60:61], v[34:35]
	v_add_f64_e64 v[40:41], v[40:41], -v[243:244]
	scratch_load_b64 v[62:63], off, off offset:252 th:TH_LOAD_LU ; 8-byte Folded Reload
	v_add_f64_e32 v[34:35], v[42:43], v[32:33]
	scratch_load_b64 v[42:43], off, off offset:404 th:TH_LOAD_LU ; 8-byte Folded Reload
	v_add_f64_e32 v[32:33], v[40:41], v[60:61]
	scratch_load_b64 v[60:61], off, off offset:316 th:TH_LOAD_LU ; 8-byte Folded Reload
	v_mul_f64_e32 v[40:41], s[16:17], v[147:148]
	s_wait_loadcnt 0x1
	s_delay_alu instid0(VALU_DEP_1) | instskip(SKIP_2) | instid1(VALU_DEP_1)
	v_add_f64_e32 v[40:41], v[42:43], v[40:41]
	v_mul_f64_e32 v[42:43], s[20:21], v[139:140]
	s_wait_loadcnt 0x0
	v_add_f64_e32 v[42:43], v[60:61], v[42:43]
	v_mul_f64_e32 v[60:61], s[22:23], v[127:128]
	s_delay_alu instid0(VALU_DEP_1) | instskip(SKIP_1) | instid1(VALU_DEP_1)
	v_add_f64_e32 v[60:61], v[62:63], v[60:61]
	v_mul_f64_e32 v[62:63], s[18:19], v[119:120]
	v_add_f64_e32 v[62:63], v[68:69], v[62:63]
	v_mul_f64_e32 v[68:69], s[14:15], v[106:107]
	s_delay_alu instid0(VALU_DEP_1) | instskip(SKIP_1) | instid1(VALU_DEP_2)
	v_add_f64_e32 v[68:69], v[70:71], v[68:69]
	v_mul_f64_e32 v[70:71], s[20:21], v[123:124]
	v_add_f64_e32 v[56:57], v[68:69], v[56:57]
	s_delay_alu instid0(VALU_DEP_2) | instskip(SKIP_2) | instid1(VALU_DEP_4)
	v_add_f64_e64 v[70:71], v[70:71], -v[80:81]
	v_mul_f64_e32 v[80:81], s[22:23], v[114:115]
	v_mul_f64_e32 v[68:69], s[16:17], v[135:136]
	v_add_f64_e32 v[56:57], v[62:63], v[56:57]
	v_mul_f64_e32 v[62:63], s[10:11], v[155:156]
	s_delay_alu instid0(VALU_DEP_4) | instskip(SKIP_1) | instid1(VALU_DEP_4)
	v_add_f64_e64 v[80:81], v[80:81], -v[82:83]
	v_mul_f64_e32 v[82:83], s[14:15], v[102:103]
	v_add_f64_e32 v[56:57], v[60:61], v[56:57]
	v_mul_f64_e32 v[60:61], s[10:11], v[143:144]
	s_delay_alu instid0(VALU_DEP_3) | instskip(SKIP_1) | instid1(VALU_DEP_4)
	v_add_f64_e64 v[82:83], v[82:83], -v[84:85]
	v_mul_f64_e32 v[84:85], s[18:19], v[110:111]
	v_add_f64_e32 v[42:43], v[42:43], v[56:57]
	s_delay_alu instid0(VALU_DEP_3)
	v_add_f64_e32 v[58:59], v[82:83], v[58:59]
	scratch_load_b64 v[82:83], off, off offset:236 th:TH_LOAD_LU ; 8-byte Folded Reload
	v_add_f64_e64 v[84:85], v[84:85], -v[86:87]
	scratch_load_b64 v[86:87], off, off offset:268 th:TH_LOAD_LU ; 8-byte Folded Reload
	v_add_f64_e32 v[40:41], v[40:41], v[42:43]
	v_add_f64_e32 v[58:59], v[84:85], v[58:59]
	s_delay_alu instid0(VALU_DEP_1)
	v_add_f64_e32 v[58:59], v[80:81], v[58:59]
	s_clause 0x1
	scratch_load_b64 v[80:81], off, off offset:260 th:TH_LOAD_LU
	scratch_load_b64 v[84:85], off, off offset:228 th:TH_LOAD_LU
	v_add_f64_e32 v[56:57], v[70:71], v[58:59]
	v_mul_f64_e32 v[58:59], s[0:1], v[159:160]
	scratch_load_b64 v[70:71], off, off offset:324 th:TH_LOAD_LU ; 8-byte Folded Reload
	s_wait_loadcnt 0x4
	v_add_f64_e64 v[68:69], v[68:69], -v[82:83]
	scratch_load_b64 v[82:83], off, off offset:308 th:TH_LOAD_LU ; 8-byte Folded Reload
	v_add_f64_e32 v[42:43], v[68:69], v[56:57]
	scratch_load_b64 v[68:69], off, off offset:276 th:TH_LOAD_LU ; 8-byte Folded Reload
	v_mul_f64_e32 v[56:57], s[0:1], v[151:152]
	s_wait_loadcnt 0x4
	v_add_f64_e64 v[60:61], v[60:61], -v[80:81]
	scratch_load_b64 v[80:81], off, off offset:492 th:TH_LOAD_LU ; 8-byte Folded Reload
	v_add_f64_e32 v[60:61], v[60:61], v[42:43]
	s_wait_loadcnt 0x3
	v_add_f64_e32 v[58:59], v[70:71], v[58:59]
	scratch_load_b64 v[70:71], off, off offset:300 th:TH_LOAD_LU ; 8-byte Folded Reload
	s_wait_loadcnt 0x3
	v_add_f64_e32 v[62:63], v[82:83], v[62:63]
	scratch_load_b64 v[82:83], off, off offset:396 th:TH_LOAD_LU ; 8-byte Folded Reload
	s_wait_loadcnt 0x3
	v_add_f64_e64 v[56:57], v[56:57], -v[68:69]
	v_add_f64_e32 v[40:41], v[62:63], v[40:41]
	s_clause 0x1
	scratch_load_b64 v[62:63], off, off offset:436 th:TH_LOAD_LU
	scratch_load_b64 v[68:69], off, off offset:364 th:TH_LOAD_LU
	v_add_f64_e32 v[42:43], v[58:59], v[40:41]
	v_add_f64_e32 v[40:41], v[56:57], v[60:61]
	scratch_load_b64 v[60:61], off, off offset:564 th:TH_LOAD_LU ; 8-byte Folded Reload
	v_mul_f64_e32 v[58:59], s[8:9], v[139:140]
	v_mul_f64_e32 v[56:57], s[0:1], v[147:148]
	s_delay_alu instid0(VALU_DEP_1) | instskip(SKIP_1) | instid1(VALU_DEP_3)
	v_add_f64_e32 v[56:57], v[157:158], v[56:57]
	s_wait_loadcnt 0x0
	v_add_f64_e32 v[58:59], v[60:61], v[58:59]
	v_mul_f64_e32 v[60:61], s[16:17], v[127:128]
	s_delay_alu instid0(VALU_DEP_1) | instskip(SKIP_1) | instid1(VALU_DEP_1)
	v_add_f64_e32 v[60:61], v[62:63], v[60:61]
	v_mul_f64_e32 v[62:63], s[22:23], v[119:120]
	v_add_f64_e32 v[62:63], v[68:69], v[62:63]
	v_mul_f64_e32 v[68:69], s[18:19], v[106:107]
	s_delay_alu instid0(VALU_DEP_1) | instskip(SKIP_1) | instid1(VALU_DEP_2)
	v_add_f64_e32 v[68:69], v[70:71], v[68:69]
	v_mul_f64_e32 v[70:71], s[0:1], v[135:136]
	v_add_f64_e32 v[44:45], v[68:69], v[44:45]
	s_delay_alu instid0(VALU_DEP_2) | instskip(SKIP_2) | instid1(VALU_DEP_4)
	v_add_f64_e64 v[70:71], v[70:71], -v[80:81]
	v_mul_f64_e32 v[80:81], s[8:9], v[123:124]
	v_mul_f64_e32 v[68:69], s[16:17], v[114:115]
	v_add_f64_e32 v[44:45], v[62:63], v[44:45]
	v_mul_f64_e32 v[62:63], s[14:15], v[155:156]
	s_delay_alu instid0(VALU_DEP_4) | instskip(SKIP_1) | instid1(VALU_DEP_4)
	v_add_f64_e64 v[80:81], v[80:81], -v[82:83]
	v_mul_f64_e32 v[82:83], s[18:19], v[102:103]
	v_add_f64_e32 v[44:45], v[60:61], v[44:45]
	v_mul_f64_e32 v[60:61], s[14:15], v[143:144]
	s_delay_alu instid0(VALU_DEP_3) | instskip(SKIP_1) | instid1(VALU_DEP_4)
	v_add_f64_e64 v[82:83], v[82:83], -v[84:85]
	v_mul_f64_e32 v[84:85], s[22:23], v[110:111]
	v_add_f64_e32 v[44:45], v[58:59], v[44:45]
	v_mul_f64_e32 v[58:59], s[20:21], v[159:160]
	s_delay_alu instid0(VALU_DEP_4)
	v_add_f64_e32 v[46:47], v[82:83], v[46:47]
	scratch_load_b64 v[82:83], off, off offset:292 th:TH_LOAD_LU ; 8-byte Folded Reload
	v_add_f64_e64 v[84:85], v[84:85], -v[86:87]
	scratch_load_b64 v[86:87], off, off offset:332 th:TH_LOAD_LU ; 8-byte Folded Reload
	v_add_f64_e32 v[44:45], v[56:57], v[44:45]
	v_mul_f64_e32 v[56:57], s[20:21], v[151:152]
	v_add_f64_e32 v[46:47], v[84:85], v[46:47]
	scratch_load_b64 v[84:85], off, off offset:284 th:TH_LOAD_LU ; 8-byte Folded Reload
	s_wait_loadcnt 0x2
	v_add_f64_e64 v[68:69], v[68:69], -v[82:83]
	scratch_load_b64 v[82:83], off, off offset:444 th:TH_LOAD_LU ; 8-byte Folded Reload
	v_add_f64_e32 v[46:47], v[68:69], v[46:47]
	scratch_load_b64 v[68:69], off, off offset:380 th:TH_LOAD_LU ; 8-byte Folded Reload
	v_add_f64_e32 v[46:47], v[80:81], v[46:47]
	;; [unrolled: 2-line block ×3, first 2 shown]
	scratch_load_b64 v[70:71], off, off offset:372 th:TH_LOAD_LU ; 8-byte Folded Reload
	s_wait_loadcnt 0x3
	v_add_f64_e32 v[62:63], v[82:83], v[62:63]
	scratch_load_b64 v[82:83], off, off offset:484 th:TH_LOAD_LU ; 8-byte Folded Reload
	s_wait_loadcnt 0x3
	v_add_f64_e64 v[60:61], v[60:61], -v[68:69]
	scratch_load_b64 v[68:69], off, off offset:428 th:TH_LOAD_LU ; 8-byte Folded Reload
	v_add_f64_e32 v[44:45], v[62:63], v[44:45]
	scratch_load_b64 v[62:63], off, off offset:532 th:TH_LOAD_LU ; 8-byte Folded Reload
	v_add_f64_e32 v[60:61], v[60:61], v[46:47]
	s_wait_loadcnt 0x1
	v_add_f64_e32 v[58:59], v[68:69], v[58:59]
	scratch_load_b64 v[68:69], off, off offset:356 th:TH_LOAD_LU ; 8-byte Folded Reload
	v_add_f64_e32 v[46:47], v[58:59], v[44:45]
	v_mul_f64_e32 v[58:59], s[10:11], v[139:140]
	s_wait_loadcnt 0x0
	v_add_f64_e64 v[56:57], v[56:57], -v[68:69]
	scratch_load_b64 v[68:69], off, off offset:460 th:TH_LOAD_LU ; 8-byte Folded Reload
	v_add_f64_e32 v[44:45], v[56:57], v[60:61]
	scratch_load_b64 v[60:61], off, off offset:628 th:TH_LOAD_LU ; 8-byte Folded Reload
	v_mul_f64_e32 v[56:57], s[20:21], v[147:148]
	s_delay_alu instid0(VALU_DEP_1) | instskip(SKIP_3) | instid1(VALU_DEP_1)
	v_add_f64_e32 v[56:57], v[179:180], v[56:57]
	s_wait_loadcnt 0x0
	v_add_f64_e32 v[58:59], v[60:61], v[58:59]
	v_mul_f64_e32 v[60:61], s[0:1], v[127:128]
	v_add_f64_e32 v[60:61], v[62:63], v[60:61]
	v_mul_f64_e32 v[62:63], s[16:17], v[119:120]
	s_delay_alu instid0(VALU_DEP_1) | instskip(SKIP_1) | instid1(VALU_DEP_1)
	v_add_f64_e32 v[62:63], v[68:69], v[62:63]
	v_mul_f64_e32 v[68:69], s[22:23], v[106:107]
	v_add_f64_e32 v[68:69], v[70:71], v[68:69]
	v_mul_f64_e32 v[70:71], s[20:21], v[135:136]
	s_delay_alu instid0(VALU_DEP_2) | instskip(NEXT) | instid1(VALU_DEP_2)
	v_add_f64_e32 v[48:49], v[68:69], v[48:49]
	v_add_f64_e64 v[70:71], v[70:71], -v[80:81]
	v_mul_f64_e32 v[80:81], s[10:11], v[123:124]
	v_mul_f64_e32 v[68:69], s[0:1], v[114:115]
	s_delay_alu instid0(VALU_DEP_4) | instskip(SKIP_1) | instid1(VALU_DEP_4)
	v_add_f64_e32 v[48:49], v[62:63], v[48:49]
	v_mul_f64_e32 v[62:63], s[18:19], v[155:156]
	v_add_f64_e64 v[80:81], v[80:81], -v[82:83]
	v_mul_f64_e32 v[82:83], s[22:23], v[102:103]
	s_delay_alu instid0(VALU_DEP_4) | instskip(SKIP_1) | instid1(VALU_DEP_3)
	v_add_f64_e32 v[48:49], v[60:61], v[48:49]
	v_mul_f64_e32 v[60:61], s[18:19], v[143:144]
	v_add_f64_e64 v[82:83], v[82:83], -v[84:85]
	v_mul_f64_e32 v[84:85], s[16:17], v[110:111]
	s_delay_alu instid0(VALU_DEP_4) | instskip(SKIP_1) | instid1(VALU_DEP_4)
	v_add_f64_e32 v[48:49], v[58:59], v[48:49]
	v_mul_f64_e32 v[58:59], s[8:9], v[159:160]
	v_add_f64_e32 v[50:51], v[82:83], v[50:51]
	scratch_load_b64 v[82:83], off, off offset:348 th:TH_LOAD_LU ; 8-byte Folded Reload
	v_add_f64_e64 v[84:85], v[84:85], -v[86:87]
	scratch_load_b64 v[86:87], off, off offset:388 th:TH_LOAD_LU ; 8-byte Folded Reload
	v_add_f64_e32 v[48:49], v[56:57], v[48:49]
	v_mul_f64_e32 v[56:57], s[8:9], v[151:152]
	v_add_f64_e32 v[50:51], v[84:85], v[50:51]
	scratch_load_b64 v[84:85], off, off offset:340 th:TH_LOAD_LU ; 8-byte Folded Reload
	s_wait_loadcnt 0x2
	v_add_f64_e64 v[68:69], v[68:69], -v[82:83]
	scratch_load_b64 v[82:83], off, off offset:540 th:TH_LOAD_LU ; 8-byte Folded Reload
	v_add_f64_e32 v[50:51], v[68:69], v[50:51]
	scratch_load_b64 v[68:69], off, off offset:476 th:TH_LOAD_LU ; 8-byte Folded Reload
	v_add_f64_e32 v[50:51], v[80:81], v[50:51]
	v_mul_f64_e32 v[80:81], s[22:23], v[123:124]
	s_delay_alu instid0(VALU_DEP_2)
	v_add_f64_e32 v[50:51], v[70:71], v[50:51]
	scratch_load_b64 v[70:71], off, off offset:468 th:TH_LOAD_LU ; 8-byte Folded Reload
	s_wait_loadcnt 0x2
	v_add_f64_e32 v[62:63], v[82:83], v[62:63]
	scratch_load_b64 v[82:83], off, off offset:604 th:TH_LOAD_LU ; 8-byte Folded Reload
	v_add_f64_e32 v[48:49], v[62:63], v[48:49]
	v_mul_f64_e32 v[62:63], s[8:9], v[119:120]
	s_wait_loadcnt 0x0
	v_add_f64_e64 v[80:81], v[80:81], -v[82:83]
	v_mul_f64_e32 v[82:83], s[20:21], v[102:103]
	s_delay_alu instid0(VALU_DEP_1) | instskip(SKIP_1) | instid1(VALU_DEP_2)
	v_add_f64_e64 v[82:83], v[82:83], -v[84:85]
	v_mul_f64_e32 v[84:85], s[8:9], v[110:111]
	v_add_f64_e32 v[54:55], v[82:83], v[54:55]
	s_delay_alu instid0(VALU_DEP_2)
	v_add_f64_e64 v[84:85], v[84:85], -v[86:87]
	scratch_load_b64 v[86:87], off, off offset:508 th:TH_LOAD_LU ; 8-byte Folded Reload
	v_add_f64_e64 v[60:61], v[60:61], -v[68:69]
	s_clause 0x1
	scratch_load_b64 v[68:69], off, off offset:524 th:TH_LOAD_LU
	scratch_load_b64 v[82:83], off, off offset:420 th:TH_LOAD_LU
	v_add_f64_e32 v[54:55], v[84:85], v[54:55]
	scratch_load_b64 v[84:85], off, off offset:412 th:TH_LOAD_LU ; 8-byte Folded Reload
	v_add_f64_e32 v[60:61], v[60:61], v[50:51]
	s_wait_loadcnt 0x2
	v_add_f64_e32 v[58:59], v[68:69], v[58:59]
	scratch_load_b64 v[68:69], off, off offset:452 th:TH_LOAD_LU ; 8-byte Folded Reload
	v_add_f64_e32 v[50:51], v[58:59], v[48:49]
	v_mul_f64_e32 v[58:59], s[22:23], v[139:140]
	s_delay_alu instid0(VALU_DEP_1)
	v_add_f64_e32 v[58:59], v[187:188], v[58:59]
	s_wait_loadcnt 0x0
	v_add_f64_e64 v[56:57], v[56:57], -v[68:69]
	scratch_load_b64 v[68:69], off, off offset:556 th:TH_LOAD_LU ; 8-byte Folded Reload
	v_add_f64_e32 v[48:49], v[56:57], v[60:61]
	v_mul_f64_e32 v[60:61], s[10:11], v[127:128]
	v_mul_f64_e32 v[56:57], s[14:15], v[147:148]
	s_delay_alu instid0(VALU_DEP_2) | instskip(NEXT) | instid1(VALU_DEP_2)
	v_add_f64_e32 v[60:61], v[153:154], v[60:61]
	v_add_f64_e32 v[56:57], v[205:206], v[56:57]
	s_wait_loadcnt 0x0
	v_add_f64_e32 v[62:63], v[68:69], v[62:63]
	v_mul_f64_e32 v[68:69], s[20:21], v[106:107]
	s_delay_alu instid0(VALU_DEP_1) | instskip(SKIP_1) | instid1(VALU_DEP_2)
	v_add_f64_e32 v[68:69], v[70:71], v[68:69]
	v_mul_f64_e32 v[70:71], s[14:15], v[135:136]
	v_add_f64_e32 v[52:53], v[68:69], v[52:53]
	v_mul_f64_e32 v[68:69], s[10:11], v[114:115]
	s_delay_alu instid0(VALU_DEP_3) | instskip(NEXT) | instid1(VALU_DEP_3)
	v_add_f64_e64 v[70:71], v[70:71], -v[173:174]
	v_add_f64_e32 v[52:53], v[62:63], v[52:53]
	s_delay_alu instid0(VALU_DEP_3) | instskip(SKIP_2) | instid1(VALU_DEP_4)
	v_add_f64_e64 v[68:69], v[68:69], -v[82:83]
	v_mul_f64_e32 v[82:83], s[16:17], v[102:103]
	v_mul_f64_e32 v[62:63], s[0:1], v[155:156]
	v_add_f64_e32 v[52:53], v[60:61], v[52:53]
	s_delay_alu instid0(VALU_DEP_4)
	v_add_f64_e32 v[54:55], v[68:69], v[54:55]
	scratch_load_b64 v[68:69], off, off offset:580 th:TH_LOAD_LU ; 8-byte Folded Reload
	v_mul_f64_e32 v[60:61], s[0:1], v[143:144]
	v_add_f64_e64 v[82:83], v[82:83], -v[84:85]
	v_add_f64_e32 v[62:63], v[161:162], v[62:63]
	v_mul_f64_e32 v[84:85], s[0:1], v[110:111]
	v_add_f64_e32 v[52:53], v[58:59], v[52:53]
	v_add_f64_e32 v[54:55], v[80:81], v[54:55]
	v_mul_f64_e32 v[58:59], s[18:19], v[159:160]
	v_mul_f64_e32 v[80:81], s[14:15], v[123:124]
	v_add_f64_e64 v[84:85], v[84:85], -v[86:87]
	scratch_load_b64 v[86:87], off, off offset:596 th:TH_LOAD_LU ; 8-byte Folded Reload
	v_add_f64_e32 v[52:53], v[56:57], v[52:53]
	v_add_f64_e32 v[54:55], v[70:71], v[54:55]
	scratch_load_b64 v[70:71], off, off offset:572 th:TH_LOAD_LU ; 8-byte Folded Reload
	v_mul_f64_e32 v[56:57], s[18:19], v[151:152]
	v_add_f64_e32 v[58:59], v[145:146], v[58:59]
	v_add_f64_e64 v[80:81], v[80:81], -v[169:170]
	v_add_f64_e32 v[52:53], v[62:63], v[52:53]
	v_mul_f64_e32 v[62:63], s[0:1], v[119:120]
	s_delay_alu instid0(VALU_DEP_1)
	v_add_f64_e32 v[62:63], v[167:168], v[62:63]
	s_wait_loadcnt 0x2
	v_add_f64_e64 v[60:61], v[60:61], -v[68:69]
	scratch_load_b64 v[68:69], off, off offset:548 th:TH_LOAD_LU ; 8-byte Folded Reload
	v_add_f64_e32 v[60:61], v[60:61], v[54:55]
	v_add_f64_e32 v[54:55], v[58:59], v[52:53]
	v_mul_f64_e32 v[58:59], s[14:15], v[139:140]
	s_delay_alu instid0(VALU_DEP_1) | instskip(SKIP_3) | instid1(VALU_DEP_2)
	v_add_f64_e32 v[58:59], v[203:204], v[58:59]
	s_wait_loadcnt 0x0
	v_add_f64_e64 v[56:57], v[56:57], -v[68:69]
	v_mul_f64_e32 v[68:69], s[16:17], v[106:107]
	v_add_f64_e32 v[52:53], v[56:57], v[60:61]
	s_delay_alu instid0(VALU_DEP_2) | instskip(SKIP_3) | instid1(VALU_DEP_4)
	v_add_f64_e32 v[68:69], v[70:71], v[68:69]
	v_mul_f64_e32 v[60:61], s[20:21], v[127:128]
	v_mul_f64_e32 v[56:57], s[8:9], v[147:148]
	;; [unrolled: 1-line block ×3, first 2 shown]
	v_add_f64_e32 v[68:69], v[68:69], v[76:77]
	v_add_f64_e32 v[76:77], v[82:83], v[78:79]
	scratch_load_b64 v[82:83], off, off offset:516 th:TH_LOAD_LU ; 8-byte Folded Reload
	v_mul_f64_e32 v[78:79], s[20:21], v[114:115]
	v_add_f64_e32 v[60:61], v[189:190], v[60:61]
	v_add_f64_e32 v[56:57], v[211:212], v[56:57]
	v_add_f64_e64 v[70:71], v[70:71], -v[193:194]
	v_add_f64_e32 v[62:63], v[62:63], v[68:69]
	v_add_f64_e32 v[68:69], v[84:85], v[76:77]
	scratch_load_b64 v[84:85], off, off offset:500 th:TH_LOAD_LU ; 8-byte Folded Reload
	v_mul_f64_e32 v[76:77], s[22:23], v[155:156]
	v_add_f64_e32 v[60:61], v[60:61], v[62:63]
	s_delay_alu instid0(VALU_DEP_2) | instskip(NEXT) | instid1(VALU_DEP_2)
	v_add_f64_e32 v[76:77], v[181:182], v[76:77]
	v_add_f64_e32 v[58:59], v[58:59], v[60:61]
	s_delay_alu instid0(VALU_DEP_1) | instskip(NEXT) | instid1(VALU_DEP_1)
	v_add_f64_e32 v[56:57], v[56:57], v[58:59]
	v_add_f64_e32 v[56:57], v[76:77], v[56:57]
	v_mul_f64_e32 v[76:77], s[10:11], v[106:107]
	s_delay_alu instid0(VALU_DEP_1) | instskip(NEXT) | instid1(VALU_DEP_1)
	v_add_f64_e32 v[76:77], v[149:150], v[76:77]
	v_add_f64_e32 v[72:73], v[76:77], v[72:73]
	v_mul_f64_e32 v[76:77], s[18:19], v[114:115]
	s_wait_loadcnt 0x1
	v_add_f64_e64 v[78:79], v[78:79], -v[82:83]
	v_mul_f64_e32 v[82:83], s[10:11], v[102:103]
	s_delay_alu instid0(VALU_DEP_2) | instskip(SKIP_1) | instid1(VALU_DEP_2)
	v_add_f64_e32 v[62:63], v[78:79], v[68:69]
	s_wait_loadcnt 0x0
	v_add_f64_e64 v[82:83], v[82:83], -v[84:85]
	v_mul_f64_e32 v[68:69], s[22:23], v[143:144]
	v_mul_f64_e32 v[84:85], s[14:15], v[110:111]
	;; [unrolled: 1-line block ×3, first 2 shown]
	v_add_f64_e32 v[60:61], v[80:81], v[62:63]
	v_add_f64_e32 v[74:75], v[82:83], v[74:75]
	scratch_load_b64 v[82:83], off, off offset:612 th:TH_LOAD_LU ; 8-byte Folded Reload
	v_add_f64_e64 v[68:69], v[68:69], -v[165:166]
	v_mul_f64_e32 v[62:63], s[10:11], v[159:160]
	v_add_f64_e64 v[84:85], v[84:85], -v[86:87]
	scratch_load_b64 v[86:87], off, off offset:148 th:TH_LOAD_LU ; 8-byte Folded Reload
	v_mul_f64_e32 v[80:81], s[0:1], v[123:124]
	v_add_f64_e64 v[78:79], v[78:79], -v[207:208]
	v_add_f64_e32 v[58:59], v[70:71], v[60:61]
	scratch_load_b64 v[70:71], off, off offset:620 th:TH_LOAD_LU ; 8-byte Folded Reload
	v_mul_f64_e32 v[60:61], s[10:11], v[151:152]
	v_add_f64_e32 v[62:63], v[177:178], v[62:63]
	v_add_f64_e64 v[80:81], v[80:81], -v[191:192]
	v_add_f64_e32 v[68:69], v[68:69], v[58:59]
	s_delay_alu instid0(VALU_DEP_3) | instskip(SKIP_1) | instid1(VALU_DEP_1)
	v_add_f64_e32 v[58:59], v[62:63], v[56:57]
	v_mul_f64_e32 v[62:63], s[0:1], v[139:140]
	v_add_f64_e32 v[62:63], v[209:210], v[62:63]
	s_wait_loadcnt 0x2
	v_add_f64_e64 v[76:77], v[76:77], -v[82:83]
	scratch_load_b64 v[82:83], off, off offset:68 th:TH_LOAD_LU ; 8-byte Folded Reload
	s_wait_loadcnt 0x1
	v_add_f64_e64 v[60:61], v[60:61], -v[70:71]
	v_mul_f64_e32 v[70:71], s[14:15], v[119:120]
	s_delay_alu instid0(VALU_DEP_2) | instskip(SKIP_1) | instid1(VALU_DEP_3)
	v_add_f64_e32 v[56:57], v[60:61], v[68:69]
	v_mul_f64_e32 v[68:69], s[18:19], v[127:128]
	v_add_f64_e32 v[70:71], v[185:186], v[70:71]
	v_mul_f64_e32 v[60:61], s[22:23], v[147:148]
	s_delay_alu instid0(VALU_DEP_3) | instskip(NEXT) | instid1(VALU_DEP_3)
	v_add_f64_e32 v[68:69], v[201:202], v[68:69]
	v_add_f64_e32 v[70:71], v[70:71], v[72:73]
	;; [unrolled: 1-line block ×3, first 2 shown]
	s_delay_alu instid0(VALU_DEP_4)
	v_add_f64_e32 v[60:61], v[213:214], v[60:61]
	v_mul_f64_e32 v[74:75], s[8:9], v[155:156]
	scratch_load_b64 v[84:85], off, off offset:92 th:TH_LOAD_LU ; 8-byte Folded Reload
	v_add_f64_e32 v[68:69], v[68:69], v[70:71]
	v_add_f64_e32 v[70:71], v[76:77], v[72:73]
	v_mul_f64_e32 v[72:73], s[8:9], v[143:144]
	v_add_f64_e32 v[74:75], v[199:200], v[74:75]
	scratch_load_b64 v[76:77], off, off offset:36 th:TH_LOAD_LU ; 8-byte Folded Reload
	v_add_f64_e32 v[62:63], v[62:63], v[68:69]
	v_add_f64_e32 v[68:69], v[80:81], v[70:71]
	scratch_load_b64 v[80:81], off, off offset:52 th:TH_LOAD_LU ; 8-byte Folded Reload
	v_mul_f64_e32 v[70:71], s[16:17], v[159:160]
	v_add_f64_e64 v[72:73], v[72:73], -v[183:184]
	v_add_f64_e32 v[60:61], v[60:61], v[62:63]
	v_add_f64_e32 v[62:63], v[78:79], v[68:69]
	v_mul_f64_e32 v[68:69], s[16:17], v[151:152]
	v_add_f64_e32 v[70:71], v[197:198], v[70:71]
	scratch_load_b64 v[78:79], off, off offset:20 th:TH_LOAD_LU ; 8-byte Folded Reload
	v_add_f64_e32 v[60:61], v[74:75], v[60:61]
	v_add_f64_e32 v[72:73], v[72:73], v[62:63]
	v_add_f64_e64 v[68:69], v[68:69], -v[175:176]
	scratch_load_b64 v[74:75], off, off offset:84 th:TH_LOAD_LU ; 8-byte Folded Reload
	v_add_f64_e32 v[62:63], v[70:71], v[60:61]
	scratch_load_b64 v[70:71], off, off offset:132 th:TH_LOAD_LU ; 8-byte Folded Reload
	v_add_f64_e32 v[60:61], v[68:69], v[72:73]
	scratch_load_b64 v[72:73], off, off offset:100 th:TH_LOAD_LU ; 8-byte Folded Reload
	v_mul_f64_e32 v[68:69], s[16:17], v[139:140]
	s_wait_loadcnt 0x1
	s_delay_alu instid0(VALU_DEP_1) | instskip(SKIP_2) | instid1(VALU_DEP_1)
	v_add_f64_e32 v[68:69], v[70:71], v[68:69]
	v_mul_f64_e32 v[70:71], s[14:15], v[127:128]
	s_wait_loadcnt 0x0
	v_add_f64_e32 v[70:71], v[72:73], v[70:71]
	v_mul_f64_e32 v[72:73], s[10:11], v[119:120]
	s_delay_alu instid0(VALU_DEP_1) | instskip(SKIP_1) | instid1(VALU_DEP_1)
	v_add_f64_e32 v[72:73], v[74:75], v[72:73]
	v_mul_f64_e32 v[74:75], s[8:9], v[106:107]
	v_add_f64_e32 v[74:75], v[76:77], v[74:75]
	v_mul_f64_e32 v[76:77], s[8:9], v[102:103]
	s_delay_alu instid0(VALU_DEP_2) | instskip(NEXT) | instid1(VALU_DEP_2)
	v_add_f64_e32 v[64:65], v[74:75], v[64:65]
	v_add_f64_e64 v[76:77], v[76:77], -v[78:79]
	v_mul_f64_e32 v[74:75], s[18:19], v[135:136]
	v_mul_f64_e32 v[78:79], s[10:11], v[110:111]
	s_delay_alu instid0(VALU_DEP_4) | instskip(NEXT) | instid1(VALU_DEP_4)
	v_add_f64_e32 v[64:65], v[72:73], v[64:65]
	v_add_f64_e32 v[66:67], v[76:77], v[66:67]
	scratch_load_b64 v[76:77], off, off offset:116 th:TH_LOAD_LU ; 8-byte Folded Reload
	v_mul_f64_e32 v[72:73], s[20:21], v[155:156]
	v_add_f64_e64 v[78:79], v[78:79], -v[80:81]
	v_mul_f64_e32 v[80:81], s[14:15], v[114:115]
	v_add_f64_e32 v[64:65], v[70:71], v[64:65]
	v_mul_f64_e32 v[70:71], s[20:21], v[143:144]
	s_delay_alu instid0(VALU_DEP_4) | instskip(NEXT) | instid1(VALU_DEP_4)
	v_add_f64_e32 v[66:67], v[78:79], v[66:67]
	v_add_f64_e64 v[80:81], v[80:81], -v[82:83]
	v_mul_f64_e32 v[82:83], s[16:17], v[123:124]
	v_add_f64_e32 v[64:65], v[68:69], v[64:65]
	v_mul_f64_e32 v[68:69], s[22:23], v[159:160]
	s_delay_alu instid0(VALU_DEP_4) | instskip(NEXT) | instid1(VALU_DEP_4)
	v_add_f64_e32 v[66:67], v[80:81], v[66:67]
	v_add_f64_e64 v[82:83], v[82:83], -v[84:85]
	v_mul_f64_e32 v[84:85], s[18:19], v[147:148]
	s_delay_alu instid0(VALU_DEP_2) | instskip(NEXT) | instid1(VALU_DEP_2)
	v_add_f64_e32 v[66:67], v[82:83], v[66:67]
	v_add_f64_e32 v[84:85], v[86:87], v[84:85]
	s_delay_alu instid0(VALU_DEP_1)
	v_add_f64_e32 v[64:65], v[84:85], v[64:65]
	s_wait_loadcnt 0x0
	v_add_f64_e64 v[74:75], v[74:75], -v[76:77]
	scratch_load_b64 v[76:77], off, off offset:164 th:TH_LOAD_LU ; 8-byte Folded Reload
	v_add_f64_e32 v[66:67], v[74:75], v[66:67]
	v_mul_f64_e32 v[74:75], s[22:23], v[151:152]
	s_wait_loadcnt 0x0
	v_add_f64_e32 v[72:73], v[76:77], v[72:73]
	scratch_load_b64 v[76:77], off, off offset:140 th:TH_LOAD_LU ; 8-byte Folded Reload
	v_add_f64_e32 v[64:65], v[72:73], v[64:65]
	s_wait_loadcnt 0x0
	v_add_f64_e64 v[70:71], v[70:71], -v[76:77]
	scratch_load_b64 v[76:77], off, off offset:172 th:TH_LOAD_LU ; 8-byte Folded Reload
	v_add_f64_e32 v[70:71], v[70:71], v[66:67]
	s_wait_loadcnt 0x0
	v_add_f64_e32 v[68:69], v[76:77], v[68:69]
	scratch_load_b64 v[76:77], off, off offset:156 th:TH_LOAD_LU ; 8-byte Folded Reload
	v_add_f64_e32 v[66:67], v[68:69], v[64:65]
	s_clause 0x1
	scratch_load_b32 v68, off, off offset:12
	scratch_load_b32 v69, off, off offset:4
	s_wait_loadcnt 0x2
	v_add_f64_e64 v[74:75], v[74:75], -v[76:77]
	s_delay_alu instid0(VALU_DEP_1) | instskip(SKIP_3) | instid1(VALU_DEP_1)
	v_add_f64_e32 v[64:65], v[74:75], v[70:71]
	s_wait_loadcnt 0x1
	v_and_b32_e32 v68, 0xffff, v68
	s_wait_loadcnt 0x0
	v_add_lshl_u32 v68, v69, v68, 4
	ds_store_b128 v68, v[40:43] offset:32
	ds_store_b128 v68, v[24:27] offset:160
	;; [unrolled: 1-line block ×15, first 2 shown]
	ds_store_b128 v68, v[36:39]
	ds_store_b128 v68, v[0:3] offset:256
.LBB0_7:
	s_wait_alu 0xfffe
	s_or_b32 exec_lo, exec_lo, s24
	scratch_load_b32 v33, off, off          ; 4-byte Folded Reload
	s_load_b128 s[0:3], s[2:3], 0x0
	global_wb scope:SCOPE_SE
	s_wait_storecnt 0x0
	s_wait_loadcnt_dscnt 0x0
	s_wait_kmcnt 0x0
	s_barrier_signal -1
	s_barrier_wait -1
	global_inv scope:SCOPE_SE
	s_mov_b32 s9, 0x3fe491b7
	s_mov_b32 s8, 0x523c161c
	;; [unrolled: 1-line block ×6, first 2 shown]
	v_lshlrev_b32_e32 v32, 7, v33
	s_clause 0x7
	global_load_b128 v[36:39], v32, s[6:7]
	global_load_b128 v[52:55], v32, s[6:7] offset:112
	global_load_b128 v[48:51], v32, s[6:7] offset:16
	;; [unrolled: 1-line block ×7, first 2 shown]
	scratch_load_b32 v32, off, off offset:4 ; 4-byte Folded Reload
	s_mov_b32 s6, 0x8c811c17
	s_mov_b32 s7, 0x3fef838b
	s_wait_loadcnt 0x0
	v_add_lshl_u32 v117, v32, v33, 4
	ds_load_b128 v[64:67], v117 offset:272
	ds_load_b128 v[68:71], v117 offset:2176
	;; [unrolled: 1-line block ×7, first 2 shown]
	scratch_load_b32 v32, off, off offset:8 ; 4-byte Folded Reload
	s_wait_dscnt 0x6
	v_mul_f64_e32 v[92:93], v[66:67], v[38:39]
	v_mul_f64_e32 v[94:95], v[64:65], v[38:39]
	s_wait_dscnt 0x5
	v_mul_f64_e32 v[96:97], v[70:71], v[54:55]
	v_mul_f64_e32 v[98:99], v[68:69], v[54:55]
	;; [unrolled: 3-line block ×3, first 2 shown]
	s_wait_dscnt 0x3
	v_mul_f64_e32 v[104:105], v[78:79], v[46:47]
	s_wait_dscnt 0x2
	v_mul_f64_e32 v[106:107], v[82:83], v[62:63]
	v_mul_f64_e32 v[108:109], v[76:77], v[46:47]
	;; [unrolled: 1-line block ×3, first 2 shown]
	s_wait_dscnt 0x1
	v_mul_f64_e32 v[112:113], v[86:87], v[58:59]
	v_mul_f64_e32 v[114:115], v[84:85], v[58:59]
	v_fma_f64 v[92:93], v[64:65], v[36:37], -v[92:93]
	v_fma_f64 v[94:95], v[66:67], v[36:37], v[94:95]
	v_fma_f64 v[68:69], v[68:69], v[52:53], -v[96:97]
	v_fma_f64 v[70:71], v[70:71], v[52:53], v[98:99]
	;; [unrolled: 2-line block ×3, first 2 shown]
	v_fma_f64 v[76:77], v[76:77], v[44:45], -v[104:105]
	v_fma_f64 v[80:81], v[80:81], v[60:61], -v[106:107]
	v_fma_f64 v[78:79], v[78:79], v[44:45], v[108:109]
	v_fma_f64 v[82:83], v[82:83], v[60:61], v[110:111]
	v_fma_f64 v[96:97], v[84:85], v[56:57], -v[112:113]
	v_fma_f64 v[98:99], v[86:87], v[56:57], v[114:115]
	ds_load_b128 v[64:67], v117 offset:1632
	ds_load_b128 v[84:87], v117
	s_wait_dscnt 0x2
	v_mul_f64_e32 v[100:101], v[90:91], v[183:184]
	v_mul_f64_e32 v[102:103], v[88:89], v[183:184]
	s_wait_dscnt 0x1
	v_mul_f64_e32 v[104:105], v[66:67], v[179:180]
	v_mul_f64_e32 v[106:107], v[64:65], v[179:180]
	v_add_f64_e64 v[108:109], v[92:93], -v[68:69]
	v_add_f64_e64 v[110:111], v[94:95], -v[70:71]
	v_add_f64_e32 v[68:69], v[92:93], v[68:69]
	v_add_f64_e32 v[70:71], v[94:95], v[70:71]
	;; [unrolled: 1-line block ×3, first 2 shown]
	v_add_f64_e64 v[94:95], v[76:77], -v[80:81]
	v_add_f64_e64 v[112:113], v[78:79], -v[82:83]
	v_add_f64_e32 v[114:115], v[72:73], v[96:97]
	v_add_f64_e32 v[118:119], v[74:75], v[98:99]
	;; [unrolled: 1-line block ×3, first 2 shown]
	v_add_f64_e64 v[72:73], v[72:73], -v[96:97]
	v_add_f64_e64 v[74:75], v[74:75], -v[98:99]
	v_fma_f64 v[88:89], v[88:89], v[181:182], -v[100:101]
	v_fma_f64 v[90:91], v[90:91], v[181:182], v[102:103]
	v_fma_f64 v[64:65], v[64:65], v[177:178], -v[104:105]
	v_fma_f64 v[66:67], v[66:67], v[177:178], v[106:107]
	s_wait_alu 0xfffe
	v_mul_f64_e32 v[96:97], s[8:9], v[108:109]
	v_mul_f64_e32 v[98:99], s[8:9], v[110:111]
	s_mov_b32 s9, 0xbfe491b7
	s_wait_dscnt 0x0
	v_fma_f64 v[100:101], v[68:69], s[10:11], v[84:85]
	v_fma_f64 v[102:103], v[70:71], s[10:11], v[86:87]
	;; [unrolled: 1-line block ×3, first 2 shown]
	v_mul_f64_e32 v[106:107], s[6:7], v[94:95]
	v_mul_f64_e32 v[122:123], s[6:7], v[112:113]
	v_fma_f64 v[124:125], v[114:115], s[10:11], v[84:85]
	v_fma_f64 v[126:127], v[118:119], s[10:11], v[86:87]
	v_fma_f64 v[128:129], v[120:121], s[10:11], v[86:87]
	s_wait_alu 0xfffe
	v_mul_f64_e32 v[130:131], s[8:9], v[112:113]
	v_mul_f64_e32 v[132:133], s[8:9], v[94:95]
	s_mov_b32 s10, 0x7e0b738b
	s_mov_b32 s11, 0x3fc63a1a
	v_add_f64_e32 v[138:139], v[114:115], v[68:69]
	v_add_f64_e32 v[140:141], v[118:119], v[70:71]
	;; [unrolled: 1-line block ×4, first 2 shown]
	v_add_f64_e64 v[64:65], v[88:89], -v[64:65]
	v_add_f64_e64 v[66:67], v[90:91], -v[66:67]
	v_fma_f64 v[88:89], v[72:73], s[6:7], v[96:97]
	v_fma_f64 v[90:91], v[74:75], s[6:7], v[98:99]
	s_wait_alu 0xfffe
	v_fma_f64 v[96:97], v[114:115], s[10:11], v[100:101]
	v_fma_f64 v[98:99], v[118:119], s[10:11], v[102:103]
	;; [unrolled: 1-line block ×3, first 2 shown]
	v_fma_f64 v[102:103], v[72:73], s[8:9], -v[106:107]
	v_fma_f64 v[104:105], v[74:75], s[8:9], -v[122:123]
	v_fma_f64 v[106:107], v[92:93], s[10:11], v[124:125]
	v_fma_f64 v[122:123], v[120:121], s[10:11], v[126:127]
	;; [unrolled: 1-line block ×5, first 2 shown]
	s_mov_b32 s6, 0xe8584cab
	s_mov_b32 s7, 0x3febb67a
	;; [unrolled: 1-line block ×3, first 2 shown]
	s_wait_alu 0xfffe
	s_mov_b32 s8, s6
	v_add_f64_e32 v[130:131], v[94:95], v[108:109]
	v_add_f64_e32 v[132:133], v[112:113], v[110:111]
	;; [unrolled: 1-line block ×4, first 2 shown]
	s_mov_b32 s10, 0x748a0bf8
	s_mov_b32 s11, 0x3fd5e3a8
	v_add_f64_e32 v[142:143], v[84:85], v[134:135]
	v_add_f64_e32 v[144:145], v[86:87], v[136:137]
	;; [unrolled: 1-line block ×4, first 2 shown]
	v_fma_f64 v[88:89], v[64:65], s[6:7], v[88:89]
	v_fma_f64 v[90:91], v[66:67], s[6:7], v[90:91]
	v_fma_f64 v[96:97], v[134:135], -0.5, v[96:97]
	v_fma_f64 v[98:99], v[136:137], -0.5, v[98:99]
	;; [unrolled: 1-line block ×3, first 2 shown]
	v_fma_f64 v[102:103], v[64:65], s[6:7], v[102:103]
	v_fma_f64 v[104:105], v[66:67], s[6:7], v[104:105]
	v_fma_f64 v[106:107], v[134:135], -0.5, v[106:107]
	v_fma_f64 v[122:123], v[136:137], -0.5, v[122:123]
	;; [unrolled: 1-line block ×3, first 2 shown]
	s_wait_alu 0xfffe
	v_fma_f64 v[66:67], v[66:67], s[8:9], v[126:127]
	v_fma_f64 v[64:65], v[64:65], s[8:9], v[128:129]
	v_add_f64_e64 v[126:127], v[130:131], -v[72:73]
	v_add_f64_e64 v[128:129], v[132:133], -v[74:75]
	v_fma_f64 v[130:131], v[146:147], -0.5, v[142:143]
	v_fma_f64 v[132:133], v[148:149], -0.5, v[144:145]
	v_add_f64_e32 v[76:77], v[76:77], v[138:139]
	v_add_f64_e32 v[78:79], v[78:79], v[140:141]
	v_fma_f64 v[94:95], v[94:95], s[10:11], v[88:89]
	v_fma_f64 v[112:113], v[112:113], s[10:11], v[90:91]
	;; [unrolled: 1-line block ×12, first 2 shown]
	v_mul_f64_e32 v[108:109], s[6:7], v[126:127]
	v_mul_f64_e32 v[110:111], s[6:7], v[128:129]
	v_add_f64_e32 v[64:65], v[80:81], v[76:77]
	v_add_f64_e32 v[66:67], v[82:83], v[78:79]
	v_fma_f64 v[76:77], v[128:129], s[6:7], v[130:131]
	v_fma_f64 v[78:79], v[126:127], s[8:9], v[132:133]
	v_add_f64_e32 v[68:69], v[112:113], v[88:89]
	v_add_f64_e32 v[80:81], v[100:101], v[96:97]
	v_add_f64_e64 v[82:83], v[70:71], -v[98:99]
	v_add_f64_e64 v[70:71], v[90:91], -v[94:95]
	v_add_f64_e32 v[72:73], v[104:105], v[92:93]
	v_add_f64_e64 v[74:75], v[102:103], -v[106:107]
	v_add_f64_e32 v[64:65], v[84:85], v[64:65]
	v_add_f64_e32 v[66:67], v[86:87], v[66:67]
	v_fma_f64 v[88:89], v[110:111], -2.0, v[76:77]
	v_fma_f64 v[90:91], v[108:109], 2.0, v[78:79]
	s_wait_loadcnt 0x0
	v_lshl_add_u32 v118, v33, 4, v32
	v_fma_f64 v[96:97], v[112:113], -2.0, v[68:69]
	v_fma_f64 v[84:85], v[100:101], -2.0, v[80:81]
	v_fma_f64 v[86:87], v[98:99], 2.0, v[82:83]
	v_fma_f64 v[98:99], v[94:95], 2.0, v[70:71]
	v_fma_f64 v[92:93], v[104:105], -2.0, v[72:73]
	v_fma_f64 v[94:95], v[106:107], 2.0, v[74:75]
	ds_store_b128 v118, v[64:67]
	ds_store_b128 v118, v[68:71] offset:272
	ds_store_b128 v118, v[72:75] offset:544
	;; [unrolled: 1-line block ×8, first 2 shown]
	global_wb scope:SCOPE_SE
	s_wait_dscnt 0x0
	s_barrier_signal -1
	s_barrier_wait -1
	global_inv scope:SCOPE_SE
	s_and_saveexec_b32 s8, vcc_lo
	s_cbranch_execz .LBB0_9
; %bb.8:
	global_load_b128 v[100:103], v255, s[4:5] offset:2448
	s_add_nc_u64 s[6:7], s[4:5], 0x990
	s_clause 0x9
	global_load_b128 v[104:107], v255, s[6:7] offset:144
	global_load_b128 v[108:111], v255, s[6:7] offset:288
	;; [unrolled: 1-line block ×10, first 2 shown]
	ds_load_b128 v[147:150], v118
	ds_load_b128 v[151:154], v118 offset:144
	ds_load_b128 v[155:158], v118 offset:288
	s_wait_loadcnt_dscnt 0x901
	v_mul_f64_e32 v[161:162], v[153:154], v[106:107]
	v_mul_f64_e32 v[106:107], v[151:152], v[106:107]
	;; [unrolled: 1-line block ×4, first 2 shown]
	s_delay_alu instid0(VALU_DEP_4) | instskip(NEXT) | instid1(VALU_DEP_4)
	v_fma_f64 v[151:152], v[151:152], v[104:105], -v[161:162]
	v_fma_f64 v[153:154], v[153:154], v[104:105], v[106:107]
	ds_load_b128 v[104:107], v118 offset:576
	v_fma_f64 v[147:148], v[147:148], v[100:101], -v[159:160]
	v_fma_f64 v[149:150], v[149:150], v[100:101], v[102:103]
	ds_load_b128 v[100:103], v118 offset:432
	s_wait_loadcnt_dscnt 0x802
	v_mul_f64_e32 v[159:160], v[157:158], v[110:111]
	v_mul_f64_e32 v[110:111], v[155:156], v[110:111]
	s_wait_loadcnt_dscnt 0x700
	v_mul_f64_e32 v[161:162], v[102:103], v[114:115]
	v_mul_f64_e32 v[114:115], v[100:101], v[114:115]
	s_delay_alu instid0(VALU_DEP_4) | instskip(NEXT) | instid1(VALU_DEP_4)
	v_fma_f64 v[155:156], v[155:156], v[108:109], -v[159:160]
	v_fma_f64 v[157:158], v[157:158], v[108:109], v[110:111]
	ds_load_b128 v[108:111], v118 offset:720
	s_wait_loadcnt 0x6
	v_mul_f64_e32 v[159:160], v[106:107], v[121:122]
	v_mul_f64_e32 v[121:122], v[104:105], v[121:122]
	v_fma_f64 v[100:101], v[100:101], v[112:113], -v[161:162]
	v_fma_f64 v[102:103], v[102:103], v[112:113], v[114:115]
	ds_load_b128 v[112:115], v118 offset:864
	s_wait_loadcnt_dscnt 0x501
	v_mul_f64_e32 v[161:162], v[110:111], v[125:126]
	v_mul_f64_e32 v[125:126], v[108:109], v[125:126]
	v_fma_f64 v[104:105], v[104:105], v[119:120], -v[159:160]
	v_fma_f64 v[106:107], v[106:107], v[119:120], v[121:122]
	ds_load_b128 v[119:122], v118 offset:1008
	s_wait_loadcnt_dscnt 0x401
	;; [unrolled: 6-line block ×3, first 2 shown]
	v_mul_f64_e32 v[163:164], v[121:122], v[133:134]
	v_mul_f64_e32 v[133:134], v[119:120], v[133:134]
	v_fma_f64 v[112:113], v[112:113], v[127:128], -v[159:160]
	v_fma_f64 v[114:115], v[114:115], v[127:128], v[129:130]
	ds_load_b128 v[127:130], v118 offset:1296
	global_load_b128 v[159:162], v255, s[6:7] offset:1584
	v_fma_f64 v[119:120], v[119:120], v[131:132], -v[163:164]
	v_fma_f64 v[121:122], v[121:122], v[131:132], v[133:134]
	s_wait_loadcnt_dscnt 0x301
	v_mul_f64_e32 v[131:132], v[125:126], v[137:138]
	v_mul_f64_e32 v[133:134], v[123:124], v[137:138]
	s_wait_loadcnt_dscnt 0x200
	v_mul_f64_e32 v[163:164], v[129:130], v[141:142]
	v_mul_f64_e32 v[141:142], v[127:128], v[141:142]
	s_delay_alu instid0(VALU_DEP_4) | instskip(NEXT) | instid1(VALU_DEP_4)
	v_fma_f64 v[123:124], v[123:124], v[135:136], -v[131:132]
	v_fma_f64 v[125:126], v[125:126], v[135:136], v[133:134]
	ds_load_b128 v[131:134], v118 offset:1440
	ds_load_b128 v[135:138], v118 offset:1584
	v_fma_f64 v[127:128], v[127:128], v[139:140], -v[163:164]
	v_fma_f64 v[129:130], v[129:130], v[139:140], v[141:142]
	global_load_b128 v[139:142], v255, s[6:7] offset:1728
	s_wait_loadcnt_dscnt 0x201
	v_mul_f64_e32 v[163:164], v[133:134], v[145:146]
	v_mul_f64_e32 v[145:146], v[131:132], v[145:146]
	s_delay_alu instid0(VALU_DEP_2) | instskip(NEXT) | instid1(VALU_DEP_2)
	v_fma_f64 v[131:132], v[131:132], v[143:144], -v[163:164]
	v_fma_f64 v[133:134], v[133:134], v[143:144], v[145:146]
	global_load_b128 v[143:146], v255, s[6:7] offset:1872
	s_wait_loadcnt_dscnt 0x200
	v_mul_f64_e32 v[163:164], v[137:138], v[161:162]
	v_mul_f64_e32 v[161:162], v[135:136], v[161:162]
	s_delay_alu instid0(VALU_DEP_2) | instskip(NEXT) | instid1(VALU_DEP_2)
	v_fma_f64 v[135:136], v[135:136], v[159:160], -v[163:164]
	v_fma_f64 v[137:138], v[137:138], v[159:160], v[161:162]
	ds_load_b128 v[159:162], v118 offset:1728
	ds_load_b128 v[163:166], v118 offset:1872
	s_wait_loadcnt_dscnt 0x101
	v_mul_f64_e32 v[167:168], v[161:162], v[141:142]
	v_mul_f64_e32 v[141:142], v[159:160], v[141:142]
	s_delay_alu instid0(VALU_DEP_2) | instskip(NEXT) | instid1(VALU_DEP_2)
	v_fma_f64 v[159:160], v[159:160], v[139:140], -v[167:168]
	v_fma_f64 v[161:162], v[161:162], v[139:140], v[141:142]
	s_wait_loadcnt_dscnt 0x0
	v_mul_f64_e32 v[139:140], v[165:166], v[145:146]
	v_mul_f64_e32 v[141:142], v[163:164], v[145:146]
	s_delay_alu instid0(VALU_DEP_2) | instskip(NEXT) | instid1(VALU_DEP_2)
	v_fma_f64 v[139:140], v[163:164], v[143:144], -v[139:140]
	v_fma_f64 v[141:142], v[165:166], v[143:144], v[141:142]
	s_clause 0x1
	global_load_b128 v[143:146], v255, s[6:7] offset:2016
	global_load_b128 v[163:166], v255, s[6:7] offset:2160
	ds_load_b128 v[167:170], v118 offset:2016
	ds_load_b128 v[171:174], v118 offset:2160
	s_wait_loadcnt_dscnt 0x101
	v_mul_f64_e32 v[175:176], v[169:170], v[145:146]
	v_mul_f64_e32 v[145:146], v[167:168], v[145:146]
	s_delay_alu instid0(VALU_DEP_2) | instskip(NEXT) | instid1(VALU_DEP_2)
	v_fma_f64 v[167:168], v[167:168], v[143:144], -v[175:176]
	v_fma_f64 v[169:170], v[169:170], v[143:144], v[145:146]
	s_wait_loadcnt_dscnt 0x0
	v_mul_f64_e32 v[143:144], v[173:174], v[165:166]
	v_mul_f64_e32 v[145:146], v[171:172], v[165:166]
	s_delay_alu instid0(VALU_DEP_2) | instskip(NEXT) | instid1(VALU_DEP_2)
	v_fma_f64 v[143:144], v[171:172], v[163:164], -v[143:144]
	v_fma_f64 v[145:146], v[173:174], v[163:164], v[145:146]
	global_load_b128 v[163:166], v255, s[6:7] offset:2304
	ds_load_b128 v[171:174], v118 offset:2304
	s_wait_loadcnt_dscnt 0x0
	v_mul_f64_e32 v[175:176], v[173:174], v[165:166]
	v_mul_f64_e32 v[165:166], v[171:172], v[165:166]
	s_delay_alu instid0(VALU_DEP_2) | instskip(NEXT) | instid1(VALU_DEP_2)
	v_fma_f64 v[171:172], v[171:172], v[163:164], -v[175:176]
	v_fma_f64 v[173:174], v[173:174], v[163:164], v[165:166]
	ds_store_b128 v118, v[147:150]
	ds_store_b128 v118, v[151:154] offset:144
	ds_store_b128 v118, v[155:158] offset:288
	;; [unrolled: 1-line block ×16, first 2 shown]
.LBB0_9:
	s_wait_alu 0xfffe
	s_or_b32 exec_lo, exec_lo, s8
	global_wb scope:SCOPE_SE
	s_wait_dscnt 0x0
	s_barrier_signal -1
	s_barrier_wait -1
	global_inv scope:SCOPE_SE
	s_and_saveexec_b32 s6, vcc_lo
	s_cbranch_execz .LBB0_11
; %bb.10:
	ds_load_b128 v[64:67], v118
	ds_load_b128 v[68:71], v118 offset:144
	ds_load_b128 v[72:75], v118 offset:288
	;; [unrolled: 1-line block ×16, first 2 shown]
.LBB0_11:
	s_wait_alu 0xfffe
	s_or_b32 exec_lo, exec_lo, s6
	global_wb scope:SCOPE_SE
	s_wait_dscnt 0x0
	s_barrier_signal -1
	s_barrier_wait -1
	global_inv scope:SCOPE_SE
	s_and_saveexec_b32 s33, vcc_lo
	s_cbranch_execz .LBB0_13
; %bb.12:
	v_add_f64_e32 v[102:103], v[64:65], v[68:69]
	v_add_f64_e32 v[100:101], v[66:67], v[70:71]
	v_add_f64_e64 v[110:111], v[72:73], -v[4:5]
	s_mov_b32 s24, 0x6c9a05f6
	s_mov_b32 s25, 0xbfe9895b
	;; [unrolled: 1-line block ×11, first 2 shown]
	s_wait_alu 0xfffe
	s_mov_b32 s42, s26
	s_mov_b32 s16, 0x3259b75e
	s_mov_b32 s17, 0x3fb79ee6
	s_mov_b32 s44, 0x7c9e640b
	s_mov_b32 s45, 0x3feca52d
	s_mov_b32 s37, 0xbfeca52d
	s_wait_alu 0xfffe
	s_mov_b32 s36, s44
	s_mov_b32 s18, 0x2b2883cd
	s_mov_b32 s19, 0x3fdc86fa
	s_mov_b32 s34, 0x2a9d6da3
	s_mov_b32 s35, 0x3fe58eea
	s_mov_b32 s49, 0xbfe58eea
	;; [unrolled: 7-line block ×3, first 2 shown]
	s_mov_b32 s41, 0x3fd71e95
	s_mov_b32 s29, 0xbfd71e95
	s_wait_alu 0xfffe
	s_mov_b32 s28, s40
	s_mov_b32 s8, 0x910ea3b9
	;; [unrolled: 1-line block ×4, first 2 shown]
	v_add_f64_e32 v[102:103], v[102:103], v[72:73]
	v_add_f64_e32 v[100:101], v[100:101], v[74:75]
	;; [unrolled: 1-line block ×3, first 2 shown]
	s_mov_b32 s9, 0xbfeb34fa
	s_mov_b32 s7, 0xbfef7484
	;; [unrolled: 1-line block ×3, first 2 shown]
	v_dual_mov_b32 v40, v181 :: v_dual_mov_b32 v41, v182
	v_dual_mov_b32 v42, v183 :: v_dual_mov_b32 v43, v184
	s_mov_b32 s51, 0x3fe9895b
	s_mov_b32 s50, s24
	;; [unrolled: 1-line block ×4, first 2 shown]
	v_mul_f64_e32 v[221:222], s[42:43], v[110:111]
	v_mul_f64_e32 v[249:250], s[24:25], v[110:111]
	scratch_store_b128 off, v[36:39], off offset:20 ; 16-byte Folded Spill
	v_dual_mov_b32 v34, v177 :: v_dual_mov_b32 v35, v178
	v_dual_mov_b32 v36, v179 :: v_dual_mov_b32 v37, v180
	v_add_f64_e32 v[102:103], v[102:103], v[76:77]
	v_add_f64_e32 v[100:101], v[100:101], v[78:79]
	s_delay_alu instid0(VALU_DEP_2) | instskip(NEXT) | instid1(VALU_DEP_2)
	v_add_f64_e32 v[102:103], v[102:103], v[80:81]
	v_add_f64_e32 v[100:101], v[100:101], v[82:83]
	s_delay_alu instid0(VALU_DEP_2) | instskip(NEXT) | instid1(VALU_DEP_2)
	;; [unrolled: 3-line block ×5, first 2 shown]
	v_add_f64_e32 v[106:107], v[102:103], v[96:97]
	v_add_f64_e32 v[104:105], v[100:101], v[98:99]
	v_add_f64_e64 v[102:103], v[96:97], -v[28:29]
	v_add_f64_e32 v[100:101], v[98:99], v[30:31]
	v_add_f64_e32 v[96:97], v[96:97], v[28:29]
	v_add_f64_e64 v[98:99], v[98:99], -v[30:31]
	v_add_f64_e32 v[106:107], v[106:107], v[28:29]
	v_add_f64_e32 v[108:109], v[104:105], v[30:31]
	v_add_f64_e64 v[104:105], v[92:93], -v[24:25]
	v_add_f64_e32 v[30:31], v[94:95], v[26:27]
	v_add_f64_e32 v[28:29], v[92:93], v[24:25]
	v_add_f64_e64 v[92:93], v[94:95], -v[26:27]
	v_add_f64_e64 v[94:95], v[88:89], -v[20:21]
	v_mul_f64_e32 v[185:186], s[26:27], v[102:103]
	v_mul_f64_e32 v[187:188], s[26:27], v[98:99]
	v_mul_f64_e32 v[189:190], s[44:45], v[102:103]
	v_mul_f64_e32 v[191:192], s[44:45], v[98:99]
	v_mul_f64_e32 v[245:246], s[40:41], v[102:103]
	v_mul_f64_e32 v[247:248], s[40:41], v[98:99]
	v_mul_f64_e32 v[201:202], s[38:39], v[102:103]
	v_mul_f64_e32 v[213:214], s[34:35], v[102:103]
	v_mul_f64_e32 v[215:216], s[34:35], v[98:99]
	v_add_f64_e32 v[106:107], v[106:107], v[24:25]
	v_add_f64_e32 v[108:109], v[108:109], v[26:27]
	;; [unrolled: 1-line block ×4, first 2 shown]
	v_add_f64_e64 v[88:89], v[90:91], -v[22:23]
	v_add_f64_e64 v[90:91], v[84:85], -v[16:17]
	s_wait_alu 0xfffe
	v_mul_f64_e32 v[237:238], s[52:53], v[94:95]
	v_mul_f64_e32 v[241:242], s[44:45], v[104:105]
	;; [unrolled: 1-line block ×8, first 2 shown]
	v_add_f64_e32 v[106:107], v[106:107], v[20:21]
	v_add_f64_e32 v[108:109], v[108:109], v[22:23]
	;; [unrolled: 1-line block ×4, first 2 shown]
	v_add_f64_e64 v[84:85], v[86:87], -v[18:19]
	v_add_f64_e64 v[86:87], v[80:81], -v[12:13]
	v_mul_f64_e32 v[38:39], s[24:25], v[88:89]
	v_mul_f64_e32 v[239:240], s[52:53], v[88:89]
	;; [unrolled: 1-line block ×5, first 2 shown]
	v_add_f64_e32 v[106:107], v[106:107], v[16:17]
	v_add_f64_e32 v[108:109], v[108:109], v[18:19]
	;; [unrolled: 1-line block ×4, first 2 shown]
	v_add_f64_e64 v[82:83], v[82:83], -v[14:15]
	v_add_f64_e32 v[80:81], v[78:79], v[10:11]
	v_add_f64_e64 v[78:79], v[78:79], -v[10:11]
	v_mul_f64_e32 v[229:230], s[30:31], v[86:87]
	v_mul_f64_e32 v[195:196], s[34:35], v[84:85]
	;; [unrolled: 1-line block ×3, first 2 shown]
	v_add_f64_e32 v[12:13], v[106:107], v[12:13]
	v_add_f64_e32 v[14:15], v[108:109], v[14:15]
	v_add_f64_e64 v[106:107], v[76:77], -v[8:9]
	v_add_f64_e32 v[76:77], v[76:77], v[8:9]
	v_add_f64_e64 v[108:109], v[74:75], -v[6:7]
	v_add_f64_e32 v[74:75], v[74:75], v[6:7]
	v_mul_f64_e32 v[227:228], s[24:25], v[78:79]
	v_mul_f64_e32 v[231:232], s[30:31], v[82:83]
	;; [unrolled: 1-line block ×5, first 2 shown]
	v_add_f64_e32 v[8:9], v[12:13], v[8:9]
	v_add_f64_e32 v[10:11], v[14:15], v[10:11]
	;; [unrolled: 1-line block ×4, first 2 shown]
	v_mul_f64_e32 v[223:224], s[42:43], v[108:109]
	v_mul_f64_e32 v[225:226], s[24:25], v[106:107]
	v_mul_f64_e32 v[251:252], s[24:25], v[108:109]
	v_add_f64_e32 v[4:5], v[8:9], v[4:5]
	v_add_f64_e64 v[8:9], v[68:69], -v[0:1]
	v_add_f64_e32 v[6:7], v[10:11], v[6:7]
	v_add_f64_e64 v[10:11], v[70:71], -v[2:3]
	s_delay_alu instid0(VALU_DEP_4) | instskip(NEXT) | instid1(VALU_DEP_4)
	v_add_f64_e32 v[0:1], v[4:5], v[0:1]
	v_mul_f64_e32 v[68:69], s[24:25], v[8:9]
	s_delay_alu instid0(VALU_DEP_4) | instskip(NEXT) | instid1(VALU_DEP_4)
	v_add_f64_e32 v[2:3], v[6:7], v[2:3]
	v_mul_f64_e32 v[139:140], s[24:25], v[10:11]
	v_mul_f64_e32 v[70:71], s[46:47], v[8:9]
	;; [unrolled: 1-line block ×13, first 2 shown]
	v_fma_f64 v[125:126], v[12:13], s[10:11], v[68:69]
	v_fma_f64 v[68:69], v[12:13], s[10:11], -v[68:69]
	scratch_store_b128 off, v[0:3], off offset:36 ; 16-byte Folded Spill
	v_fma_f64 v[153:154], v[14:15], s[10:11], -v[139:140]
	v_fma_f64 v[139:140], v[14:15], s[10:11], v[139:140]
	v_fma_f64 v[127:128], v[12:13], s[14:15], v[70:71]
	v_fma_f64 v[155:156], v[14:15], s[14:15], -v[141:142]
	v_fma_f64 v[129:130], v[12:13], s[16:17], v[112:113]
	v_fma_f64 v[157:158], v[14:15], s[16:17], -v[143:144]
	v_fma_f64 v[131:132], v[12:13], s[18:19], -v[114:115]
	v_fma_f64 v[114:115], v[12:13], s[18:19], v[114:115]
	v_fma_f64 v[159:160], v[14:15], s[18:19], v[145:146]
	v_fma_f64 v[145:146], v[14:15], s[18:19], -v[145:146]
	v_fma_f64 v[133:134], v[12:13], s[20:21], -v[119:120]
	v_fma_f64 v[119:120], v[12:13], s[20:21], v[119:120]
	v_fma_f64 v[161:162], v[14:15], s[20:21], v[147:148]
	v_fma_f64 v[147:148], v[14:15], s[20:21], -v[147:148]
	v_fma_f64 v[121:122], v[12:13], s[6:7], v[4:5]
	v_fma_f64 v[4:5], v[12:13], s[6:7], -v[4:5]
	;; [unrolled: 2-line block ×3, first 2 shown]
	v_fma_f64 v[70:71], v[12:13], s[14:15], -v[70:71]
	v_fma_f64 v[112:113], v[12:13], s[16:17], -v[112:113]
	;; [unrolled: 1-line block ×3, first 2 shown]
	v_fma_f64 v[8:9], v[12:13], s[22:23], v[8:9]
	v_mul_f64_e32 v[12:13], s[30:31], v[10:11]
	v_mul_f64_e32 v[10:11], s[28:29], v[10:11]
	v_fma_f64 v[151:152], v[14:15], s[8:9], -v[137:138]
	v_fma_f64 v[137:138], v[14:15], s[8:9], v[137:138]
	v_fma_f64 v[141:142], v[14:15], s[14:15], v[141:142]
	;; [unrolled: 1-line block ×3, first 2 shown]
	v_add_f64_e32 v[125:126], v[66:67], v[125:126]
	v_add_f64_e32 v[0:1], v[66:67], v[68:69]
	v_add_f64_e32 v[153:154], v[64:65], v[153:154]
	v_add_f64_e32 v[131:132], v[66:67], v[131:132]
	v_add_f64_e32 v[159:160], v[64:65], v[159:160]
	v_add_f64_e32 v[123:124], v[66:67], v[123:124]
	v_add_f64_e32 v[165:166], v[66:67], v[6:7]
	v_add_f64_e32 v[70:71], v[66:67], v[70:71]
	v_add_f64_e32 v[175:176], v[66:67], v[112:113]
	v_fma_f64 v[149:150], v[14:15], s[6:7], -v[12:13]
	v_fma_f64 v[12:13], v[14:15], s[6:7], v[12:13]
	v_fma_f64 v[163:164], v[14:15], s[22:23], v[10:11]
	v_fma_f64 v[10:11], v[14:15], s[22:23], -v[10:11]
	v_add_f64_e32 v[14:15], v[66:67], v[121:122]
	v_add_f64_e32 v[151:152], v[64:65], v[151:152]
	;; [unrolled: 1-line block ×4, first 2 shown]
	v_mul_f64_e32 v[141:142], s[42:43], v[86:87]
	v_add_f64_e32 v[68:69], v[64:65], v[143:144]
	v_mul_f64_e32 v[143:144], s[40:41], v[86:87]
	scratch_store_b64 off, v[0:1], off offset:188 ; 8-byte Folded Spill
	v_add_f64_e32 v[0:1], v[64:65], v[139:140]
	v_mul_f64_e32 v[139:140], s[42:43], v[82:83]
	v_add_f64_e32 v[121:122], v[64:65], v[149:150]
	v_add_f64_e32 v[149:150], v[66:67], v[4:5]
	;; [unrolled: 1-line block ×3, first 2 shown]
	scratch_store_b64 off, v[0:1], off offset:180 ; 8-byte Folded Spill
	v_add_f64_e32 v[0:1], v[66:67], v[127:128]
	v_add_f64_e32 v[127:128], v[66:67], v[133:134]
	v_add_f64_e32 v[133:134], v[64:65], v[163:164]
	scratch_store_b64 off, v[0:1], off offset:172 ; 8-byte Folded Spill
	v_add_f64_e32 v[0:1], v[64:65], v[155:156]
	v_mul_f64_e32 v[155:156], s[36:37], v[78:79]
	scratch_store_b64 off, v[0:1], off offset:164 ; 8-byte Folded Spill
	v_add_f64_e32 v[0:1], v[66:67], v[129:130]
	v_add_f64_e32 v[129:130], v[66:67], v[135:136]
	;; [unrolled: 1-line block ×3, first 2 shown]
	scratch_store_b64 off, v[0:1], off offset:156 ; 8-byte Folded Spill
	v_add_f64_e32 v[0:1], v[64:65], v[157:158]
	v_mul_f64_e32 v[157:158], s[36:37], v[90:91]
	scratch_store_b64 off, v[0:1], off offset:148 ; 8-byte Folded Spill
	v_add_f64_e32 v[0:1], v[66:67], v[114:115]
	scratch_store_b64 off, v[0:1], off offset:140 ; 8-byte Folded Spill
	v_add_f64_e32 v[0:1], v[64:65], v[145:146]
	v_mul_f64_e32 v[145:146], s[30:31], v[108:109]
	scratch_store_b64 off, v[0:1], off offset:132 ; 8-byte Folded Spill
	v_add_f64_e32 v[0:1], v[66:67], v[119:120]
	scratch_store_b64 off, v[0:1], off offset:108 ; 8-byte Folded Spill
	v_add_f64_e32 v[0:1], v[64:65], v[147:148]
	;; [unrolled: 2-line block ×3, first 2 shown]
	v_mul_f64_e32 v[8:9], s[40:41], v[110:111]
	v_fma_f64 v[66:67], v[30:31], s[16:17], -v[199:200]
	scratch_store_b64 off, v[0:1], off offset:92 ; 8-byte Folded Spill
	v_fma_f64 v[4:5], v[74:75], s[22:23], v[8:9]
	v_add_f64_e32 v[0:1], v[64:65], v[10:11]
	v_mul_f64_e32 v[10:11], s[40:41], v[108:109]
	v_fma_f64 v[8:9], v[74:75], s[22:23], -v[8:9]
	v_mul_f64_e32 v[64:65], s[24:25], v[94:95]
	v_add_f64_e32 v[4:5], v[4:5], v[14:15]
	v_mul_f64_e32 v[14:15], s[38:39], v[106:107]
	v_fma_f64 v[6:7], v[72:73], s[22:23], -v[10:11]
	v_fma_f64 v[10:11], v[72:73], s[22:23], v[10:11]
	v_add_f64_e32 v[8:9], v[8:9], v[149:150]
	scratch_store_b64 off, v[0:1], off offset:84 ; 8-byte Folded Spill
	v_fma_f64 v[112:113], v[80:81], s[8:9], v[14:15]
	v_add_f64_e32 v[6:7], v[6:7], v[121:122]
	v_add_f64_e32 v[10:11], v[10:11], v[12:13]
	v_fma_f64 v[12:13], v[80:81], s[8:9], -v[14:15]
	v_fma_f64 v[14:15], v[96:97], s[16:17], v[187:188]
	v_add_f64_e32 v[4:5], v[112:113], v[4:5]
	v_mul_f64_e32 v[112:113], s[38:39], v[78:79]
	s_delay_alu instid0(VALU_DEP_4) | instskip(NEXT) | instid1(VALU_DEP_2)
	v_add_f64_e32 v[8:9], v[12:13], v[8:9]
	v_fma_f64 v[114:115], v[76:77], s[8:9], -v[112:113]
	v_fma_f64 v[12:13], v[76:77], s[8:9], v[112:113]
	v_mul_f64_e32 v[112:113], s[44:45], v[110:111]
	s_delay_alu instid0(VALU_DEP_3) | instskip(SKIP_1) | instid1(VALU_DEP_4)
	v_add_f64_e32 v[6:7], v[114:115], v[6:7]
	v_mul_f64_e32 v[114:115], s[34:35], v[86:87]
	v_add_f64_e32 v[10:11], v[12:13], v[10:11]
	s_delay_alu instid0(VALU_DEP_2) | instskip(SKIP_2) | instid1(VALU_DEP_3)
	v_fma_f64 v[119:120], v[18:19], s[20:21], v[114:115]
	v_fma_f64 v[12:13], v[18:19], s[20:21], -v[114:115]
	v_mul_f64_e32 v[114:115], s[44:45], v[108:109]
	v_add_f64_e32 v[4:5], v[119:120], v[4:5]
	v_mul_f64_e32 v[119:120], s[34:35], v[82:83]
	s_delay_alu instid0(VALU_DEP_4) | instskip(NEXT) | instid1(VALU_DEP_2)
	v_add_f64_e32 v[8:9], v[12:13], v[8:9]
	v_fma_f64 v[121:122], v[16:17], s[20:21], -v[119:120]
	v_fma_f64 v[12:13], v[16:17], s[20:21], v[119:120]
	v_mul_f64_e32 v[119:120], s[42:43], v[106:107]
	s_delay_alu instid0(VALU_DEP_3) | instskip(SKIP_1) | instid1(VALU_DEP_4)
	v_add_f64_e32 v[6:7], v[121:122], v[6:7]
	v_mul_f64_e32 v[121:122], s[24:25], v[90:91]
	v_add_f64_e32 v[10:11], v[12:13], v[10:11]
	s_delay_alu instid0(VALU_DEP_2) | instskip(SKIP_3) | instid1(VALU_DEP_4)
	v_fma_f64 v[147:148], v[22:23], s[10:11], v[121:122]
	v_fma_f64 v[12:13], v[22:23], s[10:11], -v[121:122]
	v_fma_f64 v[121:122], v[80:81], s[16:17], v[119:120]
	v_fma_f64 v[119:120], v[80:81], s[16:17], -v[119:120]
	v_add_f64_e32 v[4:5], v[147:148], v[4:5]
	v_mul_f64_e32 v[147:148], s[24:25], v[84:85]
	v_add_f64_e32 v[8:9], v[12:13], v[8:9]
	s_delay_alu instid0(VALU_DEP_2) | instskip(SKIP_1) | instid1(VALU_DEP_2)
	v_fma_f64 v[163:164], v[20:21], s[10:11], -v[147:148]
	v_fma_f64 v[12:13], v[20:21], s[10:11], v[147:148]
	v_add_f64_e32 v[6:7], v[163:164], v[6:7]
	v_mul_f64_e32 v[163:164], s[44:45], v[94:95]
	s_delay_alu instid0(VALU_DEP_3) | instskip(NEXT) | instid1(VALU_DEP_2)
	v_add_f64_e32 v[10:11], v[12:13], v[10:11]
	v_fma_f64 v[177:178], v[26:27], s[18:19], v[163:164]
	v_fma_f64 v[12:13], v[26:27], s[18:19], -v[163:164]
	s_delay_alu instid0(VALU_DEP_2) | instskip(SKIP_1) | instid1(VALU_DEP_3)
	v_add_f64_e32 v[4:5], v[177:178], v[4:5]
	v_mul_f64_e32 v[177:178], s[44:45], v[88:89]
	v_add_f64_e32 v[8:9], v[12:13], v[8:9]
	s_mov_b32 s45, 0x3fc7851a
	s_mov_b32 s44, s30
	s_wait_alu 0xfffe
	v_mul_f64_e32 v[253:254], s[44:45], v[78:79]
	s_delay_alu instid0(VALU_DEP_3) | instskip(SKIP_1) | instid1(VALU_DEP_2)
	v_fma_f64 v[179:180], v[24:25], s[18:19], -v[177:178]
	v_fma_f64 v[12:13], v[24:25], s[18:19], v[177:178]
	v_add_f64_e32 v[6:7], v[179:180], v[6:7]
	v_mul_f64_e32 v[179:180], s[46:47], v[104:105]
	s_delay_alu instid0(VALU_DEP_3) | instskip(NEXT) | instid1(VALU_DEP_2)
	v_add_f64_e32 v[10:11], v[12:13], v[10:11]
	v_fma_f64 v[181:182], v[30:31], s[14:15], v[179:180]
	v_fma_f64 v[12:13], v[30:31], s[14:15], -v[179:180]
	s_delay_alu instid0(VALU_DEP_2) | instskip(SKIP_1) | instid1(VALU_DEP_3)
	v_add_f64_e32 v[4:5], v[181:182], v[4:5]
	v_mul_f64_e32 v[181:182], s[46:47], v[92:93]
	v_add_f64_e32 v[8:9], v[12:13], v[8:9]
	s_delay_alu instid0(VALU_DEP_2) | instskip(SKIP_1) | instid1(VALU_DEP_2)
	v_fma_f64 v[183:184], v[28:29], s[14:15], -v[181:182]
	v_fma_f64 v[12:13], v[28:29], s[14:15], v[181:182]
	v_add_f64_e32 v[183:184], v[183:184], v[6:7]
	v_fma_f64 v[6:7], v[100:101], s[16:17], v[185:186]
	s_delay_alu instid0(VALU_DEP_3) | instskip(SKIP_2) | instid1(VALU_DEP_4)
	v_add_f64_e32 v[12:13], v[12:13], v[10:11]
	v_fma_f64 v[10:11], v[100:101], s[16:17], -v[185:186]
	v_mul_f64_e32 v[185:186], s[46:47], v[102:103]
	v_add_f64_e32 v[2:3], v[6:7], v[4:5]
	v_fma_f64 v[4:5], v[96:97], s[16:17], -v[187:188]
	v_mul_f64_e32 v[187:188], s[46:47], v[98:99]
	v_fma_f64 v[6:7], v[22:23], s[20:21], -v[193:194]
	s_delay_alu instid0(VALU_DEP_3)
	v_add_f64_e32 v[0:1], v[4:5], v[183:184]
	v_mul_f64_e32 v[4:5], s[30:31], v[102:103]
	v_mul_f64_e32 v[102:103], s[24:25], v[102:103]
	scratch_store_b128 off, v[0:3], off offset:52 ; 16-byte Folded Spill
	v_add_f64_e32 v[0:1], v[14:15], v[12:13]
	v_fma_f64 v[12:13], v[74:75], s[18:19], v[112:113]
	v_fma_f64 v[14:15], v[72:73], s[18:19], -v[114:115]
	v_fma_f64 v[112:113], v[74:75], s[18:19], -v[112:113]
	v_fma_f64 v[114:115], v[72:73], s[18:19], v[114:115]
	v_add_f64_e32 v[2:3], v[10:11], v[8:9]
	v_mul_f64_e32 v[8:9], s[38:39], v[92:93]
	v_fma_f64 v[10:11], v[20:21], s[20:21], v[195:196]
	v_add_f64_e32 v[12:13], v[12:13], v[123:124]
	v_add_f64_e32 v[14:15], v[14:15], v[151:152]
	;; [unrolled: 1-line block ×4, first 2 shown]
	v_mul_f64_e32 v[165:166], s[38:39], v[82:83]
	scratch_store_b128 off, v[0:3], off offset:68 ; 16-byte Folded Spill
	v_fma_f64 v[137:138], v[72:73], s[6:7], v[145:146]
	v_add_f64_e32 v[12:13], v[121:122], v[12:13]
	v_mul_f64_e32 v[121:122], s[42:43], v[78:79]
	v_add_f64_e32 v[112:113], v[119:120], v[112:113]
	s_delay_alu instid0(VALU_DEP_4) | instskip(NEXT) | instid1(VALU_DEP_3)
	v_add_f64_e32 v[68:69], v[137:138], v[68:69]
	v_fma_f64 v[123:124], v[76:77], s[16:17], -v[121:122]
	v_fma_f64 v[119:120], v[76:77], s[16:17], v[121:122]
	v_fma_f64 v[121:122], v[96:97], s[14:15], v[187:188]
	s_delay_alu instid0(VALU_DEP_3) | instskip(SKIP_1) | instid1(VALU_DEP_4)
	v_add_f64_e32 v[14:15], v[123:124], v[14:15]
	v_mul_f64_e32 v[123:124], s[50:51], v[86:87]
	v_add_f64_e32 v[114:115], v[119:120], v[114:115]
	s_delay_alu instid0(VALU_DEP_2) | instskip(SKIP_1) | instid1(VALU_DEP_2)
	v_fma_f64 v[147:148], v[18:19], s[10:11], v[123:124]
	v_fma_f64 v[119:120], v[18:19], s[10:11], -v[123:124]
	v_add_f64_e32 v[12:13], v[147:148], v[12:13]
	v_mul_f64_e32 v[147:148], s[50:51], v[82:83]
	s_delay_alu instid0(VALU_DEP_3) | instskip(NEXT) | instid1(VALU_DEP_2)
	v_add_f64_e32 v[112:113], v[119:120], v[112:113]
	v_fma_f64 v[149:150], v[16:17], s[10:11], -v[147:148]
	v_fma_f64 v[119:120], v[16:17], s[10:11], v[147:148]
	v_mul_f64_e32 v[147:148], s[52:53], v[110:111]
	s_delay_alu instid0(VALU_DEP_3) | instskip(SKIP_1) | instid1(VALU_DEP_4)
	v_add_f64_e32 v[14:15], v[149:150], v[14:15]
	v_mul_f64_e32 v[149:150], s[28:29], v[90:91]
	v_add_f64_e32 v[114:115], v[119:120], v[114:115]
	s_delay_alu instid0(VALU_DEP_2) | instskip(SKIP_2) | instid1(VALU_DEP_3)
	v_fma_f64 v[151:152], v[22:23], s[22:23], v[149:150]
	v_fma_f64 v[119:120], v[22:23], s[22:23], -v[149:150]
	v_mul_f64_e32 v[149:150], s[52:53], v[108:109]
	v_add_f64_e32 v[12:13], v[151:152], v[12:13]
	v_mul_f64_e32 v[151:152], s[28:29], v[84:85]
	s_delay_alu instid0(VALU_DEP_4) | instskip(NEXT) | instid1(VALU_DEP_2)
	v_add_f64_e32 v[112:113], v[119:120], v[112:113]
	v_fma_f64 v[163:164], v[20:21], s[22:23], -v[151:152]
	v_fma_f64 v[119:120], v[20:21], s[22:23], v[151:152]
	v_mul_f64_e32 v[151:152], s[28:29], v[106:107]
	s_delay_alu instid0(VALU_DEP_3) | instskip(SKIP_1) | instid1(VALU_DEP_4)
	v_add_f64_e32 v[14:15], v[163:164], v[14:15]
	v_mul_f64_e32 v[163:164], s[30:31], v[94:95]
	v_add_f64_e32 v[114:115], v[119:120], v[114:115]
	s_delay_alu instid0(VALU_DEP_4) | instskip(NEXT) | instid1(VALU_DEP_3)
	v_fma_f64 v[123:124], v[80:81], s[22:23], v[151:152]
	v_fma_f64 v[177:178], v[26:27], s[6:7], v[163:164]
	v_fma_f64 v[119:120], v[26:27], s[6:7], -v[163:164]
	v_mul_f64_e32 v[163:164], s[38:39], v[86:87]
	s_delay_alu instid0(VALU_DEP_3) | instskip(SKIP_1) | instid1(VALU_DEP_4)
	v_add_f64_e32 v[12:13], v[177:178], v[12:13]
	v_mul_f64_e32 v[177:178], s[30:31], v[88:89]
	v_add_f64_e32 v[112:113], v[119:120], v[112:113]
	s_delay_alu instid0(VALU_DEP_2) | instskip(SKIP_2) | instid1(VALU_DEP_3)
	v_fma_f64 v[179:180], v[24:25], s[6:7], -v[177:178]
	v_fma_f64 v[119:120], v[24:25], s[6:7], v[177:178]
	v_mul_f64_e32 v[177:178], s[26:27], v[90:91]
	v_add_f64_e32 v[14:15], v[179:180], v[14:15]
	v_mul_f64_e32 v[179:180], s[34:35], v[104:105]
	s_delay_alu instid0(VALU_DEP_4) | instskip(NEXT) | instid1(VALU_DEP_2)
	v_add_f64_e32 v[114:115], v[119:120], v[114:115]
	v_fma_f64 v[181:182], v[30:31], s[20:21], v[179:180]
	v_fma_f64 v[119:120], v[30:31], s[20:21], -v[179:180]
	v_mul_f64_e32 v[179:180], s[26:27], v[84:85]
	s_delay_alu instid0(VALU_DEP_3) | instskip(SKIP_1) | instid1(VALU_DEP_4)
	v_add_f64_e32 v[12:13], v[181:182], v[12:13]
	v_mul_f64_e32 v[181:182], s[34:35], v[92:93]
	v_add_f64_e32 v[112:113], v[119:120], v[112:113]
	s_delay_alu instid0(VALU_DEP_2) | instskip(SKIP_3) | instid1(VALU_DEP_4)
	v_fma_f64 v[119:120], v[28:29], s[20:21], v[181:182]
	v_fma_f64 v[183:184], v[28:29], s[20:21], -v[181:182]
	v_mul_f64_e32 v[181:182], s[48:49], v[94:95]
	v_mul_f64_e32 v[94:95], s[26:27], v[94:95]
	v_add_f64_e32 v[119:120], v[119:120], v[114:115]
	s_delay_alu instid0(VALU_DEP_4)
	v_add_f64_e32 v[183:184], v[183:184], v[14:15]
	v_fma_f64 v[14:15], v[100:101], s[14:15], v[185:186]
	v_fma_f64 v[114:115], v[100:101], s[14:15], -v[185:186]
	v_mul_f64_e32 v[185:186], s[30:31], v[104:105]
	v_add_f64_e32 v[167:168], v[121:122], v[119:120]
	v_fma_f64 v[119:120], v[74:75], s[14:15], v[147:148]
	v_fma_f64 v[121:122], v[72:73], s[14:15], -v[149:150]
	v_add_f64_e32 v[2:3], v[14:15], v[12:13]
	v_fma_f64 v[12:13], v[96:97], s[14:15], -v[187:188]
	v_mul_f64_e32 v[187:188], s[30:31], v[92:93]
	v_add_f64_e32 v[169:170], v[114:115], v[112:113]
	v_mul_f64_e32 v[114:115], s[46:47], v[90:91]
	v_mul_f64_e32 v[112:113], s[46:47], v[84:85]
	s_mov_b32 s47, 0x3fe0d888
	s_mov_b32 s46, s38
	v_fma_f64 v[14:15], v[26:27], s[22:23], -v[197:198]
	s_wait_alu 0xfffe
	v_mul_f64_e32 v[233:234], s[46:47], v[90:91]
	v_mul_f64_e32 v[235:236], s[46:47], v[84:85]
	;; [unrolled: 1-line block ×3, first 2 shown]
	v_add_f64_e32 v[119:120], v[119:120], v[125:126]
	v_add_f64_e32 v[121:122], v[121:122], v[153:154]
	v_mul_f64_e32 v[153:154], s[28:29], v[78:79]
	v_add_f64_e32 v[0:1], v[12:13], v[183:184]
	v_mul_f64_e32 v[183:184], s[48:49], v[88:89]
	v_mul_f64_e32 v[12:13], s[38:39], v[104:105]
	;; [unrolled: 1-line block ×4, first 2 shown]
	v_add_f64_e32 v[119:120], v[123:124], v[119:120]
	v_fma_f64 v[123:124], v[76:77], s[22:23], -v[153:154]
	scratch_store_b128 off, v[0:3], off offset:116 ; 16-byte Folded Spill
	v_mul_f64_e32 v[0:1], s[48:49], v[110:111]
	v_mul_f64_e32 v[2:3], s[30:31], v[98:99]
	v_add_f64_e32 v[121:122], v[123:124], v[121:122]
	v_fma_f64 v[123:124], v[18:19], s[8:9], v[163:164]
	scratch_store_b64 off, v[0:1], off offset:196 ; 8-byte Folded Spill
	v_add_f64_e32 v[119:120], v[123:124], v[119:120]
	v_fma_f64 v[123:124], v[16:17], s[8:9], -v[165:166]
	s_delay_alu instid0(VALU_DEP_1) | instskip(SKIP_1) | instid1(VALU_DEP_1)
	v_add_f64_e32 v[121:122], v[123:124], v[121:122]
	v_fma_f64 v[123:124], v[22:23], s[16:17], v[177:178]
	v_add_f64_e32 v[119:120], v[123:124], v[119:120]
	v_fma_f64 v[123:124], v[20:21], s[16:17], -v[179:180]
	s_delay_alu instid0(VALU_DEP_1) | instskip(SKIP_1) | instid1(VALU_DEP_1)
	v_add_f64_e32 v[121:122], v[123:124], v[121:122]
	v_fma_f64 v[123:124], v[26:27], s[20:21], v[181:182]
	;; [unrolled: 5-line block ×4, first 2 shown]
	v_add_f64_e32 v[121:122], v[121:122], v[119:120]
	v_fma_f64 v[119:120], v[96:97], s[18:19], -v[191:192]
	s_delay_alu instid0(VALU_DEP_1) | instskip(SKIP_3) | instid1(VALU_DEP_3)
	v_add_f64_e32 v[119:120], v[119:120], v[123:124]
	v_fma_f64 v[123:124], v[74:75], s[20:21], -v[0:1]
	v_mul_f64_e32 v[0:1], s[48:49], v[108:109]
	v_mul_f64_e32 v[108:109], s[46:47], v[108:109]
	v_add_f64_e32 v[123:124], v[123:124], v[129:130]
	scratch_store_b64 off, v[0:1], off offset:204 ; 8-byte Folded Spill
	v_fma_f64 v[125:126], v[72:73], s[20:21], v[0:1]
	v_mul_f64_e32 v[0:1], s[36:37], v[106:107]
	s_delay_alu instid0(VALU_DEP_2) | instskip(NEXT) | instid1(VALU_DEP_2)
	v_add_f64_e32 v[125:126], v[125:126], v[133:134]
	v_fma_f64 v[129:130], v[80:81], s[18:19], -v[0:1]
	v_fma_f64 v[133:134], v[80:81], s[10:11], -v[225:226]
	scratch_store_b64 off, v[0:1], off offset:212 ; 8-byte Folded Spill
	v_mul_f64_e32 v[0:1], s[52:53], v[86:87]
	v_add_f64_e32 v[123:124], v[129:130], v[123:124]
	v_fma_f64 v[129:130], v[76:77], s[18:19], v[155:156]
	s_delay_alu instid0(VALU_DEP_1) | instskip(SKIP_1) | instid1(VALU_DEP_1)
	v_add_f64_e32 v[125:126], v[129:130], v[125:126]
	v_fma_f64 v[129:130], v[18:19], s[16:17], -v[141:142]
	v_add_f64_e32 v[123:124], v[129:130], v[123:124]
	v_fma_f64 v[129:130], v[16:17], s[16:17], v[139:140]
	s_delay_alu instid0(VALU_DEP_1) | instskip(SKIP_1) | instid1(VALU_DEP_1)
	v_add_f64_e32 v[125:126], v[129:130], v[125:126]
	v_fma_f64 v[129:130], v[22:23], s[14:15], -v[114:115]
	;; [unrolled: 5-line block ×3, first 2 shown]
	v_add_f64_e32 v[123:124], v[129:130], v[123:124]
	v_fma_f64 v[129:130], v[24:25], s[10:11], v[38:39]
	s_delay_alu instid0(VALU_DEP_1) | instskip(SKIP_2) | instid1(VALU_DEP_2)
	v_add_f64_e32 v[125:126], v[129:130], v[125:126]
	v_fma_f64 v[129:130], v[30:31], s[8:9], -v[12:13]
	v_fma_f64 v[12:13], v[30:31], s[8:9], v[12:13]
	v_add_f64_e32 v[123:124], v[129:130], v[123:124]
	v_fma_f64 v[129:130], v[28:29], s[8:9], v[8:9]
	v_fma_f64 v[8:9], v[28:29], s[8:9], -v[8:9]
	s_delay_alu instid0(VALU_DEP_2) | instskip(SKIP_2) | instid1(VALU_DEP_2)
	v_add_f64_e32 v[129:130], v[129:130], v[125:126]
	v_fma_f64 v[125:126], v[100:101], s[6:7], -v[4:5]
	v_fma_f64 v[4:5], v[100:101], s[6:7], v[4:5]
	v_add_f64_e32 v[125:126], v[125:126], v[123:124]
	v_fma_f64 v[123:124], v[96:97], s[6:7], v[2:3]
	v_fma_f64 v[2:3], v[96:97], s[6:7], -v[2:3]
	s_delay_alu instid0(VALU_DEP_2) | instskip(SKIP_1) | instid1(VALU_DEP_1)
	v_add_f64_e32 v[123:124], v[123:124], v[129:130]
	v_fma_f64 v[129:130], v[74:75], s[16:17], -v[221:222]
	v_add_f64_e32 v[127:128], v[129:130], v[127:128]
	v_fma_f64 v[129:130], v[72:73], s[16:17], v[223:224]
	s_delay_alu instid0(VALU_DEP_2) | instskip(NEXT) | instid1(VALU_DEP_2)
	v_add_f64_e32 v[127:128], v[133:134], v[127:128]
	v_add_f64_e32 v[129:130], v[129:130], v[135:136]
	v_fma_f64 v[133:134], v[76:77], s[10:11], v[227:228]
	s_delay_alu instid0(VALU_DEP_1) | instskip(SKIP_1) | instid1(VALU_DEP_1)
	v_add_f64_e32 v[129:130], v[133:134], v[129:130]
	v_fma_f64 v[133:134], v[18:19], s[6:7], -v[229:230]
	v_add_f64_e32 v[127:128], v[133:134], v[127:128]
	v_fma_f64 v[133:134], v[16:17], s[6:7], v[231:232]
	s_delay_alu instid0(VALU_DEP_1) | instskip(SKIP_1) | instid1(VALU_DEP_1)
	v_add_f64_e32 v[129:130], v[133:134], v[129:130]
	v_fma_f64 v[133:134], v[22:23], s[8:9], -v[233:234]
	;; [unrolled: 5-line block ×6, first 2 shown]
	v_add_f64_e32 v[131:132], v[133:134], v[131:132]
	v_fma_f64 v[133:134], v[72:73], s[10:11], v[251:252]
	s_delay_alu instid0(VALU_DEP_1) | instskip(SKIP_1) | instid1(VALU_DEP_1)
	v_add_f64_e32 v[133:134], v[133:134], v[159:160]
	v_mul_f64_e32 v[159:160], s[44:45], v[106:107]
	v_fma_f64 v[135:136], v[80:81], s[6:7], -v[159:160]
	s_delay_alu instid0(VALU_DEP_1) | instskip(SKIP_1) | instid1(VALU_DEP_1)
	v_add_f64_e32 v[131:132], v[135:136], v[131:132]
	v_fma_f64 v[135:136], v[76:77], s[6:7], v[253:254]
	v_add_f64_e32 v[133:134], v[135:136], v[133:134]
	v_fma_f64 v[135:136], v[18:19], s[14:15], -v[0:1]
	v_fma_f64 v[0:1], v[18:19], s[14:15], v[0:1]
	s_delay_alu instid0(VALU_DEP_2) | instskip(SKIP_1) | instid1(VALU_DEP_2)
	v_add_f64_e32 v[131:132], v[135:136], v[131:132]
	v_fma_f64 v[135:136], v[16:17], s[14:15], v[32:33]
	v_add_f64_e32 v[6:7], v[6:7], v[131:132]
	s_delay_alu instid0(VALU_DEP_2) | instskip(NEXT) | instid1(VALU_DEP_2)
	v_add_f64_e32 v[133:134], v[135:136], v[133:134]
	v_add_f64_e32 v[6:7], v[14:15], v[6:7]
	v_mul_f64_e32 v[14:15], s[28:29], v[88:89]
	s_delay_alu instid0(VALU_DEP_3)
	v_add_f64_e32 v[10:11], v[10:11], v[133:134]
	scratch_load_b64 v[88:89], off, off offset:180 th:TH_LOAD_LU ; 8-byte Folded Reload
	v_add_f64_e32 v[6:7], v[66:67], v[6:7]
	v_fma_f64 v[131:132], v[24:25], s[22:23], v[14:15]
	v_mul_f64_e32 v[66:67], s[42:43], v[92:93]
	v_mul_f64_e32 v[92:93], s[28:29], v[92:93]
	v_fma_f64 v[14:15], v[24:25], s[22:23], -v[14:15]
	s_delay_alu instid0(VALU_DEP_4) | instskip(NEXT) | instid1(VALU_DEP_4)
	v_add_f64_e32 v[10:11], v[131:132], v[10:11]
	v_fma_f64 v[131:132], v[28:29], s[16:17], v[66:67]
	s_delay_alu instid0(VALU_DEP_1) | instskip(SKIP_1) | instid1(VALU_DEP_1)
	v_add_f64_e32 v[10:11], v[131:132], v[10:11]
	v_fma_f64 v[131:132], v[100:101], s[8:9], -v[201:202]
	v_add_f64_e32 v[133:134], v[131:132], v[6:7]
	v_mul_f64_e32 v[6:7], s[38:39], v[98:99]
	v_mul_f64_e32 v[98:99], s[24:25], v[98:99]
	s_delay_alu instid0(VALU_DEP_2) | instskip(SKIP_1) | instid1(VALU_DEP_2)
	v_fma_f64 v[131:132], v[96:97], s[8:9], v[6:7]
	v_fma_f64 v[6:7], v[96:97], s[8:9], -v[6:7]
	v_add_f64_e32 v[131:132], v[131:132], v[10:11]
	v_mul_f64_e32 v[10:11], s[30:31], v[110:111]
	s_delay_alu instid0(VALU_DEP_1) | instskip(SKIP_1) | instid1(VALU_DEP_2)
	v_fma_f64 v[135:136], v[74:75], s[6:7], -v[10:11]
	v_fma_f64 v[10:11], v[74:75], s[6:7], v[10:11]
	v_add_f64_e32 v[135:136], v[135:136], v[175:176]
	v_mul_f64_e32 v[175:176], s[52:53], v[106:107]
	v_mul_f64_e32 v[106:107], s[34:35], v[106:107]
	s_delay_alu instid0(VALU_DEP_2) | instskip(NEXT) | instid1(VALU_DEP_2)
	v_fma_f64 v[137:138], v[80:81], s[14:15], -v[175:176]
	v_fma_f64 v[161:162], v[80:81], s[20:21], -v[106:107]
	v_fma_f64 v[106:107], v[80:81], s[20:21], v[106:107]
	s_delay_alu instid0(VALU_DEP_3) | instskip(SKIP_1) | instid1(VALU_DEP_1)
	v_add_f64_e32 v[135:136], v[137:138], v[135:136]
	v_fma_f64 v[137:138], v[76:77], s[14:15], v[203:204]
	v_add_f64_e32 v[68:69], v[137:138], v[68:69]
	v_fma_f64 v[137:138], v[18:19], s[22:23], -v[143:144]
	s_delay_alu instid0(VALU_DEP_1) | instskip(SKIP_1) | instid1(VALU_DEP_1)
	v_add_f64_e32 v[135:136], v[137:138], v[135:136]
	v_fma_f64 v[137:138], v[16:17], s[22:23], v[205:206]
	v_add_f64_e32 v[68:69], v[137:138], v[68:69]
	v_fma_f64 v[137:138], v[22:23], s[18:19], -v[157:158]
	s_delay_alu instid0(VALU_DEP_1) | instskip(SKIP_1) | instid1(VALU_DEP_1)
	;; [unrolled: 5-line block ×5, first 2 shown]
	v_add_f64_e32 v[137:138], v[137:138], v[135:136]
	v_fma_f64 v[135:136], v[96:97], s[20:21], v[215:216]
	v_add_f64_e32 v[135:136], v[135:136], v[68:69]
	v_mul_f64_e32 v[68:69], s[46:47], v[110:111]
	s_delay_alu instid0(VALU_DEP_1) | instskip(SKIP_1) | instid1(VALU_DEP_2)
	v_fma_f64 v[110:111], v[74:75], s[8:9], -v[68:69]
	v_fma_f64 v[68:69], v[74:75], s[8:9], v[68:69]
	v_add_f64_e32 v[70:71], v[110:111], v[70:71]
	v_fma_f64 v[110:111], v[72:73], s[8:9], v[108:109]
	s_delay_alu instid0(VALU_DEP_2) | instskip(NEXT) | instid1(VALU_DEP_2)
	v_add_f64_e32 v[70:71], v[161:162], v[70:71]
	v_add_f64_e32 v[110:111], v[110:111], v[217:218]
	v_fma_f64 v[161:162], v[76:77], s[20:21], v[78:79]
	v_mul_f64_e32 v[217:218], s[36:37], v[82:83]
	v_fma_f64 v[78:79], v[76:77], s[20:21], -v[78:79]
	s_delay_alu instid0(VALU_DEP_3) | instskip(SKIP_1) | instid1(VALU_DEP_4)
	v_add_f64_e32 v[110:111], v[161:162], v[110:111]
	v_mul_f64_e32 v[161:162], s[36:37], v[86:87]
	v_fma_f64 v[82:83], v[16:17], s[18:19], v[217:218]
	s_delay_alu instid0(VALU_DEP_2) | instskip(NEXT) | instid1(VALU_DEP_2)
	v_fma_f64 v[86:87], v[18:19], s[18:19], -v[161:162]
	v_add_f64_e32 v[82:83], v[82:83], v[110:111]
	v_mul_f64_e32 v[110:111], s[30:31], v[84:85]
	s_delay_alu instid0(VALU_DEP_3) | instskip(SKIP_1) | instid1(VALU_DEP_3)
	v_add_f64_e32 v[70:71], v[86:87], v[70:71]
	v_fma_f64 v[86:87], v[22:23], s[6:7], -v[90:91]
	v_fma_f64 v[84:85], v[20:21], s[6:7], v[110:111]
	s_delay_alu instid0(VALU_DEP_2) | instskip(SKIP_3) | instid1(VALU_DEP_1)
	v_add_f64_e32 v[70:71], v[86:87], v[70:71]
	scratch_load_b64 v[86:87], off, off offset:188 th:TH_LOAD_LU ; 8-byte Folded Reload
	v_add_f64_e32 v[82:83], v[84:85], v[82:83]
	v_fma_f64 v[84:85], v[26:27], s[16:17], -v[94:95]
	v_add_f64_e32 v[70:71], v[84:85], v[70:71]
	v_fma_f64 v[84:85], v[24:25], s[16:17], v[219:220]
	s_delay_alu instid0(VALU_DEP_1) | instskip(SKIP_1) | instid1(VALU_DEP_1)
	v_add_f64_e32 v[82:83], v[84:85], v[82:83]
	v_fma_f64 v[84:85], v[30:31], s[22:23], -v[104:105]
	v_add_f64_e32 v[70:71], v[84:85], v[70:71]
	v_fma_f64 v[84:85], v[28:29], s[22:23], v[92:93]
	s_delay_alu instid0(VALU_DEP_1) | instskip(SKIP_1) | instid1(VALU_DEP_1)
	v_add_f64_e32 v[82:83], v[84:85], v[82:83]
	v_fma_f64 v[84:85], v[100:101], s[10:11], -v[102:103]
	v_add_f64_e32 v[84:85], v[84:85], v[70:71]
	v_fma_f64 v[70:71], v[96:97], s[10:11], v[98:99]
	s_delay_alu instid0(VALU_DEP_1) | instskip(SKIP_3) | instid1(VALU_DEP_2)
	v_add_f64_e32 v[82:83], v[70:71], v[82:83]
	v_fma_f64 v[70:71], v[74:75], s[14:15], -v[147:148]
	v_fma_f64 v[147:148], v[96:97], s[18:19], v[191:192]
	s_wait_loadcnt 0x0
	v_add_f64_e32 v[70:71], v[70:71], v[86:87]
	v_fma_f64 v[86:87], v[72:73], s[14:15], v[149:150]
	s_delay_alu instid0(VALU_DEP_1) | instskip(SKIP_1) | instid1(VALU_DEP_1)
	v_add_f64_e32 v[86:87], v[86:87], v[88:89]
	v_fma_f64 v[88:89], v[80:81], s[22:23], -v[151:152]
	v_add_f64_e32 v[70:71], v[88:89], v[70:71]
	v_fma_f64 v[88:89], v[76:77], s[22:23], v[153:154]
	s_delay_alu instid0(VALU_DEP_1) | instskip(SKIP_1) | instid1(VALU_DEP_1)
	v_add_f64_e32 v[86:87], v[88:89], v[86:87]
	v_fma_f64 v[88:89], v[18:19], s[8:9], -v[163:164]
	;; [unrolled: 5-line block ×3, first 2 shown]
	v_add_f64_e32 v[70:71], v[88:89], v[70:71]
	v_fma_f64 v[88:89], v[20:21], s[16:17], v[179:180]
	v_dual_mov_b32 v180, v37 :: v_dual_mov_b32 v179, v36
	v_dual_mov_b32 v178, v35 :: v_dual_mov_b32 v177, v34
	scratch_load_b64 v[34:35], off, off offset:172 th:TH_LOAD_LU ; 8-byte Folded Reload
	v_add_f64_e32 v[86:87], v[88:89], v[86:87]
	v_fma_f64 v[88:89], v[26:27], s[20:21], -v[181:182]
	s_delay_alu instid0(VALU_DEP_1) | instskip(SKIP_3) | instid1(VALU_DEP_3)
	v_add_f64_e32 v[70:71], v[88:89], v[70:71]
	v_fma_f64 v[88:89], v[24:25], s[20:21], v[183:184]
	v_dual_mov_b32 v184, v43 :: v_dual_mov_b32 v183, v42
	v_dual_mov_b32 v182, v41 :: v_dual_mov_b32 v181, v40
	v_add_f64_e32 v[86:87], v[88:89], v[86:87]
	v_fma_f64 v[88:89], v[30:31], s[6:7], -v[185:186]
	s_delay_alu instid0(VALU_DEP_1) | instskip(SKIP_1) | instid1(VALU_DEP_1)
	v_add_f64_e32 v[70:71], v[88:89], v[70:71]
	v_fma_f64 v[88:89], v[28:29], s[6:7], v[187:188]
	v_add_f64_e32 v[86:87], v[88:89], v[86:87]
	v_fma_f64 v[88:89], v[100:101], s[18:19], -v[189:190]
	s_delay_alu instid0(VALU_DEP_2) | instskip(NEXT) | instid1(VALU_DEP_2)
	v_add_f64_e32 v[86:87], v[147:148], v[86:87]
	v_add_f64_e32 v[88:89], v[88:89], v[70:71]
	v_fma_f64 v[70:71], v[72:73], s[8:9], -v[108:109]
	s_wait_loadcnt 0x0
	v_add_f64_e32 v[68:69], v[68:69], v[34:35]
	scratch_load_b64 v[34:35], off, off offset:164 th:TH_LOAD_LU ; 8-byte Folded Reload
	v_add_f64_e32 v[68:69], v[106:107], v[68:69]
	s_wait_loadcnt 0x0
	v_add_f64_e32 v[70:71], v[70:71], v[34:35]
	scratch_load_b64 v[34:35], off, off offset:156 th:TH_LOAD_LU ; 8-byte Folded Reload
	v_add_f64_e32 v[70:71], v[78:79], v[70:71]
	v_fma_f64 v[78:79], v[18:19], s[18:19], v[161:162]
	s_delay_alu instid0(VALU_DEP_1) | instskip(SKIP_1) | instid1(VALU_DEP_1)
	v_add_f64_e32 v[68:69], v[78:79], v[68:69]
	v_fma_f64 v[78:79], v[16:17], s[18:19], -v[217:218]
	v_add_f64_e32 v[70:71], v[78:79], v[70:71]
	v_fma_f64 v[78:79], v[22:23], s[6:7], v[90:91]
	v_fma_f64 v[90:91], v[96:97], s[10:11], -v[98:99]
	s_delay_alu instid0(VALU_DEP_2) | instskip(SKIP_1) | instid1(VALU_DEP_1)
	v_add_f64_e32 v[68:69], v[78:79], v[68:69]
	v_fma_f64 v[78:79], v[20:21], s[6:7], -v[110:111]
	v_add_f64_e32 v[70:71], v[78:79], v[70:71]
	v_fma_f64 v[78:79], v[26:27], s[16:17], v[94:95]
	s_delay_alu instid0(VALU_DEP_1) | instskip(SKIP_1) | instid1(VALU_DEP_1)
	v_add_f64_e32 v[68:69], v[78:79], v[68:69]
	v_fma_f64 v[78:79], v[24:25], s[16:17], -v[219:220]
	v_add_f64_e32 v[70:71], v[78:79], v[70:71]
	v_fma_f64 v[78:79], v[30:31], s[22:23], v[104:105]
	s_delay_alu instid0(VALU_DEP_1)
	v_add_f64_e32 v[68:69], v[78:79], v[68:69]
	v_fma_f64 v[78:79], v[28:29], s[22:23], -v[92:93]
	s_wait_loadcnt 0x0
	v_add_f64_e32 v[10:11], v[10:11], v[34:35]
	scratch_load_b64 v[34:35], off, off offset:148 th:TH_LOAD_LU ; 8-byte Folded Reload
	v_add_f64_e32 v[70:71], v[78:79], v[70:71]
	v_fma_f64 v[78:79], v[100:101], s[10:11], v[102:103]
	s_delay_alu instid0(VALU_DEP_2) | instskip(NEXT) | instid1(VALU_DEP_2)
	v_add_f64_e32 v[90:91], v[90:91], v[70:71]
	v_add_f64_e32 v[92:93], v[78:79], v[68:69]
	v_fma_f64 v[68:69], v[80:81], s[14:15], v[175:176]
	v_fma_f64 v[70:71], v[76:77], s[14:15], -v[203:204]
	v_fma_f64 v[78:79], v[96:97], s[20:21], -v[215:216]
	s_delay_alu instid0(VALU_DEP_3) | instskip(SKIP_1) | instid1(VALU_DEP_1)
	v_add_f64_e32 v[10:11], v[68:69], v[10:11]
	v_fma_f64 v[68:69], v[18:19], s[22:23], v[143:144]
	v_add_f64_e32 v[10:11], v[68:69], v[10:11]
	v_fma_f64 v[68:69], v[22:23], s[18:19], v[157:158]
	s_delay_alu instid0(VALU_DEP_1) | instskip(SKIP_1) | instid1(VALU_DEP_1)
	v_add_f64_e32 v[10:11], v[68:69], v[10:11]
	v_fma_f64 v[68:69], v[26:27], s[8:9], v[209:210]
	v_add_f64_e32 v[10:11], v[68:69], v[10:11]
	v_fma_f64 v[68:69], v[72:73], s[6:7], -v[145:146]
	s_wait_loadcnt 0x0
	s_delay_alu instid0(VALU_DEP_1) | instskip(SKIP_3) | instid1(VALU_DEP_1)
	v_add_f64_e32 v[68:69], v[68:69], v[34:35]
	scratch_load_b64 v[34:35], off, off offset:140 th:TH_LOAD_LU ; 8-byte Folded Reload
	v_add_f64_e32 v[68:69], v[70:71], v[68:69]
	v_fma_f64 v[70:71], v[16:17], s[22:23], -v[205:206]
	v_add_f64_e32 v[68:69], v[70:71], v[68:69]
	v_fma_f64 v[70:71], v[20:21], s[18:19], -v[207:208]
	s_delay_alu instid0(VALU_DEP_1) | instskip(SKIP_1) | instid1(VALU_DEP_1)
	v_add_f64_e32 v[68:69], v[70:71], v[68:69]
	v_fma_f64 v[70:71], v[24:25], s[8:9], -v[173:174]
	v_add_f64_e32 v[68:69], v[70:71], v[68:69]
	v_fma_f64 v[70:71], v[30:31], s[10:11], v[211:212]
	s_delay_alu instid0(VALU_DEP_1) | instskip(SKIP_1) | instid1(VALU_DEP_1)
	v_add_f64_e32 v[10:11], v[70:71], v[10:11]
	v_fma_f64 v[70:71], v[28:29], s[10:11], -v[171:172]
	v_add_f64_e32 v[68:69], v[70:71], v[68:69]
	v_fma_f64 v[70:71], v[100:101], s[20:21], v[213:214]
	s_delay_alu instid0(VALU_DEP_2) | instskip(NEXT) | instid1(VALU_DEP_2)
	v_add_f64_e32 v[102:103], v[78:79], v[68:69]
	v_add_f64_e32 v[104:105], v[70:71], v[10:11]
	v_fma_f64 v[10:11], v[74:75], s[10:11], v[249:250]
	v_fma_f64 v[68:69], v[72:73], s[10:11], -v[251:252]
	v_fma_f64 v[70:71], v[80:81], s[6:7], v[159:160]
	s_wait_loadcnt 0x0
	s_delay_alu instid0(VALU_DEP_3) | instskip(SKIP_3) | instid1(VALU_DEP_2)
	v_add_f64_e32 v[10:11], v[10:11], v[34:35]
	scratch_load_b64 v[34:35], off, off offset:132 th:TH_LOAD_LU ; 8-byte Folded Reload
	v_add_f64_e32 v[10:11], v[70:71], v[10:11]
	v_fma_f64 v[70:71], v[76:77], s[6:7], -v[253:254]
	v_add_f64_e32 v[0:1], v[0:1], v[10:11]
	v_fma_f64 v[10:11], v[16:17], s[14:15], -v[32:33]
	v_fma_f64 v[32:33], v[22:23], s[20:21], v[193:194]
	s_delay_alu instid0(VALU_DEP_1) | instskip(SKIP_3) | instid1(VALU_DEP_1)
	v_add_f64_e32 v[0:1], v[32:33], v[0:1]
	v_fma_f64 v[32:33], v[20:21], s[20:21], -v[195:196]
	s_wait_loadcnt 0x0
	v_add_f64_e32 v[68:69], v[68:69], v[34:35]
	v_add_f64_e32 v[68:69], v[70:71], v[68:69]
	s_delay_alu instid0(VALU_DEP_1) | instskip(NEXT) | instid1(VALU_DEP_1)
	v_add_f64_e32 v[10:11], v[10:11], v[68:69]
	v_add_f64_e32 v[10:11], v[32:33], v[10:11]
	v_fma_f64 v[32:33], v[26:27], s[22:23], v[197:198]
	s_delay_alu instid0(VALU_DEP_2) | instskip(NEXT) | instid1(VALU_DEP_2)
	v_add_f64_e32 v[10:11], v[14:15], v[10:11]
	v_add_f64_e32 v[0:1], v[32:33], v[0:1]
	v_fma_f64 v[14:15], v[30:31], s[16:17], v[199:200]
	scratch_load_b64 v[32:33], off, off offset:84 th:TH_LOAD_LU ; 8-byte Folded Reload
	v_add_f64_e32 v[0:1], v[14:15], v[0:1]
	v_fma_f64 v[14:15], v[28:29], s[16:17], -v[66:67]
	s_delay_alu instid0(VALU_DEP_1) | instskip(SKIP_1) | instid1(VALU_DEP_2)
	v_add_f64_e32 v[10:11], v[14:15], v[10:11]
	v_fma_f64 v[14:15], v[100:101], s[8:9], v[201:202]
	v_add_f64_e32 v[106:107], v[6:7], v[10:11]
	s_clause 0x1
	scratch_load_b64 v[6:7], off, off offset:108 th:TH_LOAD_LU
	scratch_load_b64 v[10:11], off, off offset:100 th:TH_LOAD_LU
	v_add_f64_e32 v[108:109], v[14:15], v[0:1]
	v_fma_f64 v[0:1], v[74:75], s[16:17], v[221:222]
	v_fma_f64 v[14:15], v[96:97], s[22:23], -v[247:248]
	s_wait_loadcnt 0x1
	s_delay_alu instid0(VALU_DEP_2) | instskip(SKIP_2) | instid1(VALU_DEP_1)
	v_add_f64_e32 v[0:1], v[0:1], v[6:7]
	v_fma_f64 v[6:7], v[72:73], s[16:17], -v[223:224]
	s_wait_loadcnt 0x0
	v_add_f64_e32 v[6:7], v[6:7], v[10:11]
	v_fma_f64 v[10:11], v[80:81], s[10:11], v[225:226]
	s_delay_alu instid0(VALU_DEP_1) | instskip(SKIP_1) | instid1(VALU_DEP_1)
	v_add_f64_e32 v[0:1], v[10:11], v[0:1]
	v_fma_f64 v[10:11], v[76:77], s[10:11], -v[227:228]
	v_add_f64_e32 v[6:7], v[10:11], v[6:7]
	v_fma_f64 v[10:11], v[18:19], s[6:7], v[229:230]
	v_fma_f64 v[18:19], v[18:19], s[16:17], v[141:142]
	s_delay_alu instid0(VALU_DEP_2) | instskip(SKIP_1) | instid1(VALU_DEP_1)
	v_add_f64_e32 v[0:1], v[10:11], v[0:1]
	v_fma_f64 v[10:11], v[16:17], s[6:7], -v[231:232]
	v_add_f64_e32 v[6:7], v[10:11], v[6:7]
	v_fma_f64 v[10:11], v[22:23], s[8:9], v[233:234]
	s_delay_alu instid0(VALU_DEP_1) | instskip(SKIP_1) | instid1(VALU_DEP_1)
	v_add_f64_e32 v[0:1], v[10:11], v[0:1]
	v_fma_f64 v[10:11], v[20:21], s[8:9], -v[235:236]
	v_add_f64_e32 v[6:7], v[10:11], v[6:7]
	v_fma_f64 v[10:11], v[26:27], s[14:15], v[237:238]
	s_delay_alu instid0(VALU_DEP_1) | instskip(SKIP_1) | instid1(VALU_DEP_1)
	;; [unrolled: 5-line block ×3, first 2 shown]
	v_add_f64_e32 v[0:1], v[10:11], v[0:1]
	v_fma_f64 v[10:11], v[28:29], s[18:19], -v[243:244]
	v_add_f64_e32 v[6:7], v[10:11], v[6:7]
	v_fma_f64 v[10:11], v[100:101], s[22:23], v[245:246]
	s_delay_alu instid0(VALU_DEP_2) | instskip(NEXT) | instid1(VALU_DEP_2)
	v_add_f64_e32 v[68:69], v[14:15], v[6:7]
	v_add_f64_e32 v[70:71], v[10:11], v[0:1]
	s_clause 0x3
	scratch_load_b64 v[0:1], off, off offset:196 th:TH_LOAD_LU
	scratch_load_b64 v[6:7], off, off offset:204 th:TH_LOAD_LU
	;; [unrolled: 1-line block ×4, first 2 shown]
	s_wait_loadcnt 0x3
	v_fma_f64 v[0:1], v[74:75], s[20:21], v[0:1]
	s_wait_loadcnt 0x2
	v_fma_f64 v[6:7], v[72:73], s[20:21], -v[6:7]
	s_wait_loadcnt 0x1
	v_fma_f64 v[10:11], v[80:81], s[18:19], v[10:11]
	s_wait_loadcnt 0x0
	s_delay_alu instid0(VALU_DEP_3) | instskip(SKIP_1) | instid1(VALU_DEP_4)
	v_add_f64_e32 v[0:1], v[0:1], v[14:15]
	v_fma_f64 v[14:15], v[76:77], s[18:19], -v[155:156]
	v_add_f64_e32 v[6:7], v[6:7], v[32:33]
	s_delay_alu instid0(VALU_DEP_3) | instskip(SKIP_1) | instid1(VALU_DEP_3)
	v_add_f64_e32 v[0:1], v[10:11], v[0:1]
	v_fma_f64 v[10:11], v[16:17], s[16:17], -v[139:140]
	v_add_f64_e32 v[6:7], v[14:15], v[6:7]
	v_fma_f64 v[14:15], v[22:23], s[14:15], v[114:115]
	v_fma_f64 v[16:17], v[20:21], s[14:15], -v[112:113]
	v_add_f64_e32 v[0:1], v[18:19], v[0:1]
	s_delay_alu instid0(VALU_DEP_4) | instskip(SKIP_1) | instid1(VALU_DEP_3)
	v_add_f64_e32 v[6:7], v[10:11], v[6:7]
	v_fma_f64 v[10:11], v[26:27], s[10:11], v[64:65]
	v_add_f64_e32 v[0:1], v[14:15], v[0:1]
	v_fma_f64 v[14:15], v[24:25], s[10:11], -v[38:39]
	scratch_load_b128 v[36:39], off, off offset:20 ; 16-byte Folded Reload
	v_add_f64_e32 v[6:7], v[16:17], v[6:7]
	v_add_f64_e32 v[0:1], v[10:11], v[0:1]
	s_delay_alu instid0(VALU_DEP_2) | instskip(NEXT) | instid1(VALU_DEP_2)
	v_add_f64_e32 v[6:7], v[14:15], v[6:7]
	v_add_f64_e32 v[0:1], v[12:13], v[0:1]
	s_delay_alu instid0(VALU_DEP_2) | instskip(NEXT) | instid1(VALU_DEP_2)
	v_add_f64_e32 v[6:7], v[8:9], v[6:7]
	v_add_f64_e32 v[18:19], v[4:5], v[0:1]
	s_clause 0x1
	scratch_load_b32 v0, off, off offset:12 th:TH_LOAD_LU
	scratch_load_b32 v1, off, off offset:8 th:TH_LOAD_LU
	v_add_f64_e32 v[16:17], v[2:3], v[6:7]
	s_wait_loadcnt 0x1
	v_and_b32_e32 v0, 0xffff, v0
	s_wait_loadcnt 0x0
	s_delay_alu instid0(VALU_DEP_1)
	v_lshl_add_u32 v0, v0, 4, v1
	scratch_load_b128 v[1:4], off, off offset:36 th:TH_LOAD_LU ; 16-byte Folded Reload
	s_wait_loadcnt 0x0
	ds_store_b128 v0, v[1:4]
	ds_store_b128 v0, v[123:126] offset:16
	ds_store_b128 v0, v[127:130] offset:32
	;; [unrolled: 1-line block ×7, first 2 shown]
	scratch_load_b128 v[1:4], off, off offset:68 th:TH_LOAD_LU ; 16-byte Folded Reload
	s_wait_loadcnt 0x0
	ds_store_b128 v0, v[1:4] offset:128
	scratch_load_b128 v[1:4], off, off offset:52 th:TH_LOAD_LU ; 16-byte Folded Reload
	s_wait_loadcnt 0x0
	ds_store_b128 v0, v[1:4] offset:144
	;; [unrolled: 3-line block ×3, first 2 shown]
	ds_store_b128 v0, v[119:122] offset:176
	ds_store_b128 v0, v[90:93] offset:192
	;; [unrolled: 1-line block ×6, first 2 shown]
.LBB0_13:
	s_or_b32 exec_lo, exec_lo, s33
	global_wb scope:SCOPE_SE
	s_wait_storecnt_dscnt 0x0
	s_barrier_signal -1
	s_barrier_wait -1
	global_inv scope:SCOPE_SE
	ds_load_b128 v[0:3], v117 offset:272
	ds_load_b128 v[4:7], v117 offset:2176
	;; [unrolled: 1-line block ×7, first 2 shown]
	s_mov_b32 s6, 0x8c811c17
	s_mov_b32 s10, 0xa2cf5039
	;; [unrolled: 1-line block ×8, first 2 shown]
	s_wait_dscnt 0x6
	v_mul_f64_e32 v[28:29], v[38:39], v[2:3]
	v_mul_f64_e32 v[30:31], v[38:39], v[0:1]
	s_wait_dscnt 0x5
	v_mul_f64_e32 v[32:33], v[54:55], v[6:7]
	v_mul_f64_e32 v[34:35], v[54:55], v[4:5]
	;; [unrolled: 3-line block ×3, first 2 shown]
	s_wait_dscnt 0x3
	v_mul_f64_e32 v[54:55], v[46:47], v[14:15]
	s_wait_dscnt 0x2
	v_mul_f64_e32 v[64:65], v[62:63], v[18:19]
	v_mul_f64_e32 v[46:47], v[46:47], v[12:13]
	;; [unrolled: 1-line block ×3, first 2 shown]
	s_wait_dscnt 0x1
	v_mul_f64_e32 v[66:67], v[58:59], v[22:23]
	v_mul_f64_e32 v[58:59], v[58:59], v[20:21]
	v_fma_f64 v[28:29], v[36:37], v[0:1], v[28:29]
	v_fma_f64 v[30:31], v[36:37], v[2:3], -v[30:31]
	v_fma_f64 v[4:5], v[52:53], v[4:5], v[32:33]
	v_fma_f64 v[6:7], v[52:53], v[6:7], -v[34:35]
	;; [unrolled: 2-line block ×3, first 2 shown]
	v_fma_f64 v[12:13], v[44:45], v[12:13], v[54:55]
	v_fma_f64 v[16:17], v[60:61], v[16:17], v[64:65]
	v_fma_f64 v[14:15], v[44:45], v[14:15], -v[46:47]
	v_fma_f64 v[18:19], v[60:61], v[18:19], -v[62:63]
	v_fma_f64 v[20:21], v[56:57], v[20:21], v[66:67]
	v_fma_f64 v[22:23], v[56:57], v[22:23], -v[58:59]
	ds_load_b128 v[0:3], v117 offset:1632
	s_wait_dscnt 0x1
	v_mul_f64_e32 v[32:33], v[183:184], v[26:27]
	v_mul_f64_e32 v[34:35], v[183:184], v[24:25]
	v_add_f64_e64 v[42:43], v[28:29], -v[4:5]
	v_add_f64_e64 v[44:45], v[30:31], -v[6:7]
	v_add_f64_e32 v[28:29], v[28:29], v[4:5]
	v_add_f64_e32 v[30:31], v[30:31], v[6:7]
	ds_load_b128 v[4:7], v117
	s_wait_dscnt 0x1
	v_mul_f64_e32 v[38:39], v[179:180], v[2:3]
	v_mul_f64_e32 v[40:41], v[179:180], v[0:1]
	v_add_f64_e32 v[46:47], v[12:13], v[16:17]
	v_add_f64_e64 v[48:49], v[12:13], -v[16:17]
	v_add_f64_e64 v[50:51], v[14:15], -v[18:19]
	v_add_f64_e32 v[52:53], v[8:9], v[20:21]
	v_add_f64_e32 v[54:55], v[10:11], v[22:23]
	;; [unrolled: 1-line block ×3, first 2 shown]
	v_fma_f64 v[24:25], v[181:182], v[24:25], v[32:33]
	v_fma_f64 v[26:27], v[181:182], v[26:27], -v[34:35]
	v_add_f64_e64 v[8:9], v[8:9], -v[20:21]
	v_add_f64_e64 v[10:11], v[10:11], -v[22:23]
	s_wait_alu 0xfffe
	v_mul_f64_e32 v[20:21], s[8:9], v[42:43]
	v_mul_f64_e32 v[22:23], s[8:9], v[44:45]
	s_wait_dscnt 0x0
	v_fma_f64 v[32:33], v[28:29], s[10:11], v[4:5]
	v_fma_f64 v[34:35], v[30:31], s[10:11], v[6:7]
	s_mov_b32 s9, 0xbfe491b7
	v_fma_f64 v[0:1], v[177:178], v[0:1], v[38:39]
	v_fma_f64 v[2:3], v[177:178], v[2:3], -v[40:41]
	v_fma_f64 v[36:37], v[46:47], s[10:11], v[4:5]
	v_mul_f64_e32 v[38:39], s[6:7], v[48:49]
	v_mul_f64_e32 v[40:41], s[6:7], v[50:51]
	v_fma_f64 v[58:59], v[52:53], s[10:11], v[4:5]
	v_fma_f64 v[60:61], v[54:55], s[10:11], v[6:7]
	;; [unrolled: 1-line block ×3, first 2 shown]
	s_wait_alu 0xfffe
	v_mul_f64_e32 v[64:65], s[8:9], v[50:51]
	v_mul_f64_e32 v[66:67], s[8:9], v[48:49]
	v_add_f64_e32 v[72:73], v[52:53], v[28:29]
	v_add_f64_e32 v[74:75], v[54:55], v[30:31]
	s_mov_b32 s10, 0x7e0b738b
	s_mov_b32 s11, 0x3fc63a1a
	v_fma_f64 v[20:21], v[8:9], s[6:7], v[20:21]
	v_fma_f64 v[22:23], v[10:11], s[6:7], v[22:23]
	v_add_f64_e32 v[68:69], v[24:25], v[0:1]
	v_add_f64_e32 v[70:71], v[26:27], v[2:3]
	v_add_f64_e64 v[0:1], v[24:25], -v[0:1]
	v_add_f64_e64 v[2:3], v[26:27], -v[2:3]
	s_wait_alu 0xfffe
	v_fma_f64 v[24:25], v[52:53], s[10:11], v[32:33]
	v_fma_f64 v[26:27], v[54:55], s[10:11], v[34:35]
	;; [unrolled: 1-line block ×3, first 2 shown]
	v_fma_f64 v[34:35], v[8:9], s[8:9], -v[38:39]
	v_fma_f64 v[36:37], v[10:11], s[8:9], -v[40:41]
	v_fma_f64 v[38:39], v[46:47], s[10:11], v[58:59]
	v_fma_f64 v[40:41], v[56:57], s[10:11], v[60:61]
	;; [unrolled: 1-line block ×5, first 2 shown]
	v_add_f64_e32 v[80:81], v[46:47], v[72:73]
	v_add_f64_e32 v[82:83], v[56:57], v[74:75]
	s_mov_b32 s6, 0xe8584cab
	s_mov_b32 s7, 0x3febb67a
	;; [unrolled: 1-line block ×3, first 2 shown]
	s_wait_alu 0xfffe
	s_mov_b32 s8, s6
	v_add_f64_e32 v[64:65], v[48:49], v[42:43]
	v_add_f64_e32 v[66:67], v[50:51], v[44:45]
	s_mov_b32 s10, 0x748a0bf8
	s_mov_b32 s11, 0x3fd5e3a8
	v_add_f64_e32 v[72:73], v[68:69], v[72:73]
	v_add_f64_e32 v[74:75], v[70:71], v[74:75]
	v_fma_f64 v[20:21], v[0:1], s[6:7], v[20:21]
	v_fma_f64 v[22:23], v[2:3], s[6:7], v[22:23]
	v_fma_f64 v[24:25], v[68:69], -0.5, v[24:25]
	v_fma_f64 v[26:27], v[70:71], -0.5, v[26:27]
	;; [unrolled: 1-line block ×3, first 2 shown]
	v_fma_f64 v[34:35], v[0:1], s[6:7], v[34:35]
	v_fma_f64 v[36:37], v[2:3], s[6:7], v[36:37]
	v_fma_f64 v[38:39], v[68:69], -0.5, v[38:39]
	v_fma_f64 v[40:41], v[70:71], -0.5, v[40:41]
	v_add_f64_e32 v[76:77], v[4:5], v[68:69]
	v_add_f64_e32 v[78:79], v[6:7], v[70:71]
	v_fma_f64 v[58:59], v[70:71], -0.5, v[58:59]
	s_wait_alu 0xfffe
	v_fma_f64 v[2:3], v[2:3], s[8:9], v[60:61]
	v_fma_f64 v[0:1], v[0:1], s[8:9], v[62:63]
	v_add_f64_e64 v[60:61], v[64:65], -v[8:9]
	v_add_f64_e64 v[62:63], v[66:67], -v[10:11]
	v_add_f64_e32 v[12:13], v[12:13], v[72:73]
	v_add_f64_e32 v[14:15], v[14:15], v[74:75]
	v_fma_f64 v[48:49], v[48:49], s[10:11], v[20:21]
	v_fma_f64 v[50:51], v[50:51], s[10:11], v[22:23]
	;; [unrolled: 1-line block ×9, first 2 shown]
	v_fma_f64 v[64:65], v[80:81], -0.5, v[76:77]
	v_fma_f64 v[66:67], v[82:83], -0.5, v[78:79]
	v_fma_f64 v[34:35], v[54:55], s[14:15], v[58:59]
	v_fma_f64 v[36:37], v[10:11], s[10:11], v[2:3]
	;; [unrolled: 1-line block ×3, first 2 shown]
	v_mul_f64_e32 v[40:41], s[6:7], v[60:61]
	v_mul_f64_e32 v[42:43], s[6:7], v[62:63]
	v_add_f64_e32 v[44:45], v[16:17], v[12:13]
	v_add_f64_e32 v[46:47], v[18:19], v[14:15]
	v_add_f64_e64 v[8:9], v[20:21], -v[50:51]
	v_add_f64_e32 v[10:11], v[48:49], v[22:23]
	v_add_f64_e64 v[12:13], v[28:29], -v[32:33]
	v_add_f64_e32 v[14:15], v[26:27], v[30:31]
	v_fma_f64 v[0:1], v[62:63], s[8:9], v[64:65]
	v_fma_f64 v[2:3], v[60:61], s[6:7], v[66:67]
	v_add_f64_e64 v[16:17], v[24:25], -v[36:37]
	v_add_f64_e32 v[18:19], v[38:39], v[34:35]
	v_add_f64_e32 v[4:5], v[4:5], v[44:45]
	;; [unrolled: 1-line block ×3, first 2 shown]
	v_fma_f64 v[24:25], v[50:51], 2.0, v[8:9]
	v_fma_f64 v[28:29], v[32:33], 2.0, v[12:13]
	v_fma_f64 v[30:31], v[26:27], -2.0, v[14:15]
	v_fma_f64 v[26:27], v[48:49], -2.0, v[10:11]
	v_fma_f64 v[20:21], v[42:43], 2.0, v[0:1]
	v_fma_f64 v[22:23], v[40:41], -2.0, v[2:3]
	v_fma_f64 v[32:33], v[36:37], 2.0, v[16:17]
	v_fma_f64 v[34:35], v[38:39], -2.0, v[18:19]
	ds_store_b128 v118, v[4:7]
	ds_store_b128 v118, v[8:11] offset:272
	ds_store_b128 v118, v[16:19] offset:544
	;; [unrolled: 1-line block ×8, first 2 shown]
	global_wb scope:SCOPE_SE
	s_wait_dscnt 0x0
	s_barrier_signal -1
	s_barrier_wait -1
	global_inv scope:SCOPE_SE
	s_and_b32 exec_lo, exec_lo, vcc_lo
	s_cbranch_execz .LBB0_15
; %bb.14:
	s_clause 0x1
	scratch_load_b32 v0, off, off offset:4 th:TH_LOAD_LU
	scratch_load_b32 v17, off, off th:TH_LOAD_LU
	global_load_b128 v[3:6], v255, s[4:5]
	ds_load_b128 v[7:10], v118
	s_mov_b32 s6, 0x1ac5701b
	s_mov_b32 s7, 0x3f7ac570
	s_wait_loadcnt 0x2
	v_lshl_add_u32 v2, v0, 4, v255
	ds_load_b128 v[11:14], v2 offset:144
	s_wait_loadcnt_dscnt 0x1
	v_mul_f64_e32 v[0:1], v[9:10], v[5:6]
	v_mul_f64_e32 v[5:6], v[7:8], v[5:6]
	s_delay_alu instid0(VALU_DEP_2) | instskip(NEXT) | instid1(VALU_DEP_2)
	v_fma_f64 v[0:1], v[7:8], v[3:4], v[0:1]
	v_fma_f64 v[5:6], v[3:4], v[9:10], -v[5:6]
	v_mad_co_u64_u32 v[7:8], null, s2, v116, 0
	v_mad_co_u64_u32 v[9:10], null, s0, v17, 0
	s_wait_alu 0xfffe
	s_delay_alu instid0(VALU_DEP_4) | instskip(NEXT) | instid1(VALU_DEP_4)
	v_mul_f64_e32 v[3:4], s[6:7], v[0:1]
	v_mul_f64_e32 v[5:6], s[6:7], v[5:6]
	s_delay_alu instid0(VALU_DEP_3) | instskip(NEXT) | instid1(VALU_DEP_1)
	v_dual_mov_b32 v0, v8 :: v_dual_mov_b32 v1, v10
	v_mad_co_u64_u32 v[15:16], null, s3, v116, v[0:1]
	v_mad_co_u64_u32 v[0:1], null, s1, v17, v[1:2]
	s_mul_u64 s[2:3], s[0:1], 0x90
	s_delay_alu instid0(VALU_DEP_2) | instskip(NEXT) | instid1(VALU_DEP_2)
	v_mov_b32_e32 v8, v15
	v_mov_b32_e32 v10, v0
	s_delay_alu instid0(VALU_DEP_2) | instskip(NEXT) | instid1(VALU_DEP_2)
	v_lshlrev_b64_e32 v[0:1], 4, v[7:8]
	v_lshlrev_b64_e32 v[7:8], 4, v[9:10]
	s_delay_alu instid0(VALU_DEP_2) | instskip(NEXT) | instid1(VALU_DEP_3)
	v_add_co_u32 v0, vcc_lo, s12, v0
	v_add_co_ci_u32_e32 v1, vcc_lo, s13, v1, vcc_lo
	s_delay_alu instid0(VALU_DEP_2) | instskip(SKIP_1) | instid1(VALU_DEP_2)
	v_add_co_u32 v7, vcc_lo, v0, v7
	s_wait_alu 0xfffd
	v_add_co_ci_u32_e32 v8, vcc_lo, v1, v8, vcc_lo
	s_wait_alu 0xfffe
	s_delay_alu instid0(VALU_DEP_2)
	v_add_co_u32 v15, vcc_lo, v7, s2
	global_store_b128 v[7:8], v[3:6], off
	global_load_b128 v[3:6], v255, s[4:5] offset:144
	s_wait_alu 0xfffd
	v_add_co_ci_u32_e32 v16, vcc_lo, s3, v8, vcc_lo
	s_wait_loadcnt_dscnt 0x0
	v_mul_f64_e32 v[9:10], v[13:14], v[5:6]
	v_mul_f64_e32 v[5:6], v[11:12], v[5:6]
	s_delay_alu instid0(VALU_DEP_2) | instskip(NEXT) | instid1(VALU_DEP_2)
	v_fma_f64 v[9:10], v[11:12], v[3:4], v[9:10]
	v_fma_f64 v[5:6], v[3:4], v[13:14], -v[5:6]
	s_delay_alu instid0(VALU_DEP_2) | instskip(NEXT) | instid1(VALU_DEP_2)
	v_mul_f64_e32 v[3:4], s[6:7], v[9:10]
	v_mul_f64_e32 v[5:6], s[6:7], v[5:6]
	global_store_b128 v[15:16], v[3:6], off
	global_load_b128 v[3:6], v255, s[4:5] offset:288
	ds_load_b128 v[7:10], v2 offset:288
	ds_load_b128 v[11:14], v2 offset:432
	s_wait_loadcnt_dscnt 0x1
	v_mul_f64_e32 v[17:18], v[9:10], v[5:6]
	v_mul_f64_e32 v[5:6], v[7:8], v[5:6]
	s_delay_alu instid0(VALU_DEP_2) | instskip(NEXT) | instid1(VALU_DEP_2)
	v_fma_f64 v[7:8], v[7:8], v[3:4], v[17:18]
	v_fma_f64 v[5:6], v[3:4], v[9:10], -v[5:6]
	s_delay_alu instid0(VALU_DEP_2) | instskip(NEXT) | instid1(VALU_DEP_2)
	v_mul_f64_e32 v[3:4], s[6:7], v[7:8]
	v_mul_f64_e32 v[5:6], s[6:7], v[5:6]
	v_add_co_u32 v7, vcc_lo, v15, s2
	s_wait_alu 0xfffd
	v_add_co_ci_u32_e32 v8, vcc_lo, s3, v16, vcc_lo
	s_delay_alu instid0(VALU_DEP_2) | instskip(SKIP_1) | instid1(VALU_DEP_2)
	v_add_co_u32 v15, vcc_lo, v7, s2
	s_wait_alu 0xfffd
	v_add_co_ci_u32_e32 v16, vcc_lo, s3, v8, vcc_lo
	global_store_b128 v[7:8], v[3:6], off
	global_load_b128 v[3:6], v255, s[4:5] offset:432
	s_wait_loadcnt_dscnt 0x0
	v_mul_f64_e32 v[9:10], v[13:14], v[5:6]
	v_mul_f64_e32 v[5:6], v[11:12], v[5:6]
	s_delay_alu instid0(VALU_DEP_2) | instskip(NEXT) | instid1(VALU_DEP_2)
	v_fma_f64 v[9:10], v[11:12], v[3:4], v[9:10]
	v_fma_f64 v[5:6], v[3:4], v[13:14], -v[5:6]
	s_delay_alu instid0(VALU_DEP_2) | instskip(NEXT) | instid1(VALU_DEP_2)
	v_mul_f64_e32 v[3:4], s[6:7], v[9:10]
	v_mul_f64_e32 v[5:6], s[6:7], v[5:6]
	global_store_b128 v[15:16], v[3:6], off
	global_load_b128 v[3:6], v255, s[4:5] offset:576
	ds_load_b128 v[7:10], v2 offset:576
	ds_load_b128 v[11:14], v2 offset:720
	s_wait_loadcnt_dscnt 0x1
	v_mul_f64_e32 v[17:18], v[9:10], v[5:6]
	v_mul_f64_e32 v[5:6], v[7:8], v[5:6]
	s_delay_alu instid0(VALU_DEP_2) | instskip(NEXT) | instid1(VALU_DEP_2)
	v_fma_f64 v[7:8], v[7:8], v[3:4], v[17:18]
	v_fma_f64 v[5:6], v[3:4], v[9:10], -v[5:6]
	s_delay_alu instid0(VALU_DEP_2) | instskip(NEXT) | instid1(VALU_DEP_2)
	v_mul_f64_e32 v[3:4], s[6:7], v[7:8]
	v_mul_f64_e32 v[5:6], s[6:7], v[5:6]
	v_add_co_u32 v7, vcc_lo, v15, s2
	s_wait_alu 0xfffd
	v_add_co_ci_u32_e32 v8, vcc_lo, s3, v16, vcc_lo
	s_delay_alu instid0(VALU_DEP_2) | instskip(SKIP_1) | instid1(VALU_DEP_2)
	v_add_co_u32 v15, vcc_lo, v7, s2
	s_wait_alu 0xfffd
	v_add_co_ci_u32_e32 v16, vcc_lo, s3, v8, vcc_lo
	global_store_b128 v[7:8], v[3:6], off
	global_load_b128 v[3:6], v255, s[4:5] offset:720
	;; [unrolled: 31-line block ×6, first 2 shown]
	s_wait_loadcnt_dscnt 0x0
	v_mul_f64_e32 v[9:10], v[13:14], v[5:6]
	v_mul_f64_e32 v[5:6], v[11:12], v[5:6]
	s_delay_alu instid0(VALU_DEP_2) | instskip(NEXT) | instid1(VALU_DEP_2)
	v_fma_f64 v[9:10], v[11:12], v[3:4], v[9:10]
	v_fma_f64 v[5:6], v[3:4], v[13:14], -v[5:6]
	s_delay_alu instid0(VALU_DEP_2) | instskip(NEXT) | instid1(VALU_DEP_2)
	v_mul_f64_e32 v[3:4], s[6:7], v[9:10]
	v_mul_f64_e32 v[5:6], s[6:7], v[5:6]
	global_store_b128 v[15:16], v[3:6], off
	global_load_b128 v[3:6], v255, s[4:5] offset:2016
	ds_load_b128 v[7:10], v2 offset:2016
	ds_load_b128 v[11:14], v2 offset:2160
	s_wait_loadcnt_dscnt 0x1
	v_mul_f64_e32 v[17:18], v[9:10], v[5:6]
	v_mul_f64_e32 v[5:6], v[7:8], v[5:6]
	s_delay_alu instid0(VALU_DEP_2) | instskip(NEXT) | instid1(VALU_DEP_2)
	v_fma_f64 v[7:8], v[7:8], v[3:4], v[17:18]
	v_fma_f64 v[5:6], v[3:4], v[9:10], -v[5:6]
	s_delay_alu instid0(VALU_DEP_2) | instskip(NEXT) | instid1(VALU_DEP_2)
	v_mul_f64_e32 v[3:4], s[6:7], v[7:8]
	v_mul_f64_e32 v[5:6], s[6:7], v[5:6]
	v_add_co_u32 v7, vcc_lo, v15, s2
	s_wait_alu 0xfffd
	v_add_co_ci_u32_e32 v8, vcc_lo, s3, v16, vcc_lo
	global_store_b128 v[7:8], v[3:6], off
	global_load_b128 v[3:6], v255, s[4:5] offset:2160
	v_add_co_u32 v7, vcc_lo, v7, s2
	s_wait_alu 0xfffd
	v_add_co_ci_u32_e32 v8, vcc_lo, s3, v8, vcc_lo
	s_wait_loadcnt_dscnt 0x0
	v_mul_f64_e32 v[9:10], v[13:14], v[5:6]
	v_mul_f64_e32 v[5:6], v[11:12], v[5:6]
	s_delay_alu instid0(VALU_DEP_2) | instskip(NEXT) | instid1(VALU_DEP_2)
	v_fma_f64 v[9:10], v[11:12], v[3:4], v[9:10]
	v_fma_f64 v[5:6], v[3:4], v[13:14], -v[5:6]
	s_delay_alu instid0(VALU_DEP_2) | instskip(NEXT) | instid1(VALU_DEP_2)
	v_mul_f64_e32 v[3:4], s[6:7], v[9:10]
	v_mul_f64_e32 v[5:6], s[6:7], v[5:6]
	global_store_b128 v[7:8], v[3:6], off
	global_load_b128 v[3:6], v255, s[4:5] offset:2304
	ds_load_b128 v[7:10], v2 offset:2304
	s_wait_loadcnt_dscnt 0x0
	v_mul_f64_e32 v[11:12], v[9:10], v[5:6]
	v_mul_f64_e32 v[5:6], v[7:8], v[5:6]
	s_delay_alu instid0(VALU_DEP_2) | instskip(SKIP_3) | instid1(VALU_DEP_2)
	v_fma_f64 v[7:8], v[7:8], v[3:4], v[11:12]
	scratch_load_b32 v11, off, off offset:16 th:TH_LOAD_LU ; 4-byte Folded Reload
	v_fma_f64 v[4:5], v[3:4], v[9:10], -v[5:6]
	v_mul_f64_e32 v[2:3], s[6:7], v[7:8]
	v_mul_f64_e32 v[4:5], s[6:7], v[4:5]
	s_wait_loadcnt 0x0
	v_mad_co_u64_u32 v[9:10], null, s0, v11, 0
	s_delay_alu instid0(VALU_DEP_1) | instskip(NEXT) | instid1(VALU_DEP_1)
	v_mov_b32_e32 v6, v10
	v_mad_co_u64_u32 v[6:7], null, s1, v11, v[6:7]
	s_delay_alu instid0(VALU_DEP_1) | instskip(NEXT) | instid1(VALU_DEP_1)
	v_mov_b32_e32 v10, v6
	v_lshlrev_b64_e32 v[6:7], 4, v[9:10]
	s_delay_alu instid0(VALU_DEP_1) | instskip(SKIP_1) | instid1(VALU_DEP_2)
	v_add_co_u32 v0, vcc_lo, v0, v6
	s_wait_alu 0xfffd
	v_add_co_ci_u32_e32 v1, vcc_lo, v1, v7, vcc_lo
	global_store_b128 v[0:1], v[2:5], off
.LBB0_15:
	s_nop 0
	s_sendmsg sendmsg(MSG_DEALLOC_VGPRS)
	s_endpgm
	.section	.rodata,"a",@progbits
	.p2align	6, 0x0
	.amdhsa_kernel bluestein_single_fwd_len153_dim1_dp_op_CI_CI
		.amdhsa_group_segment_fixed_size 17136
		.amdhsa_private_segment_fixed_size 640
		.amdhsa_kernarg_size 104
		.amdhsa_user_sgpr_count 2
		.amdhsa_user_sgpr_dispatch_ptr 0
		.amdhsa_user_sgpr_queue_ptr 0
		.amdhsa_user_sgpr_kernarg_segment_ptr 1
		.amdhsa_user_sgpr_dispatch_id 0
		.amdhsa_user_sgpr_private_segment_size 0
		.amdhsa_wavefront_size32 1
		.amdhsa_uses_dynamic_stack 0
		.amdhsa_enable_private_segment 1
		.amdhsa_system_sgpr_workgroup_id_x 1
		.amdhsa_system_sgpr_workgroup_id_y 0
		.amdhsa_system_sgpr_workgroup_id_z 0
		.amdhsa_system_sgpr_workgroup_info 0
		.amdhsa_system_vgpr_workitem_id 0
		.amdhsa_next_free_vgpr 256
		.amdhsa_next_free_sgpr 54
		.amdhsa_reserve_vcc 1
		.amdhsa_float_round_mode_32 0
		.amdhsa_float_round_mode_16_64 0
		.amdhsa_float_denorm_mode_32 3
		.amdhsa_float_denorm_mode_16_64 3
		.amdhsa_fp16_overflow 0
		.amdhsa_workgroup_processor_mode 1
		.amdhsa_memory_ordered 1
		.amdhsa_forward_progress 0
		.amdhsa_round_robin_scheduling 0
		.amdhsa_exception_fp_ieee_invalid_op 0
		.amdhsa_exception_fp_denorm_src 0
		.amdhsa_exception_fp_ieee_div_zero 0
		.amdhsa_exception_fp_ieee_overflow 0
		.amdhsa_exception_fp_ieee_underflow 0
		.amdhsa_exception_fp_ieee_inexact 0
		.amdhsa_exception_int_div_zero 0
	.end_amdhsa_kernel
	.text
.Lfunc_end0:
	.size	bluestein_single_fwd_len153_dim1_dp_op_CI_CI, .Lfunc_end0-bluestein_single_fwd_len153_dim1_dp_op_CI_CI
                                        ; -- End function
	.section	.AMDGPU.csdata,"",@progbits
; Kernel info:
; codeLenInByte = 20664
; NumSgprs: 56
; NumVgprs: 256
; ScratchSize: 640
; MemoryBound: 0
; FloatMode: 240
; IeeeMode: 1
; LDSByteSize: 17136 bytes/workgroup (compile time only)
; SGPRBlocks: 6
; VGPRBlocks: 31
; NumSGPRsForWavesPerEU: 56
; NumVGPRsForWavesPerEU: 256
; Occupancy: 5
; WaveLimiterHint : 1
; COMPUTE_PGM_RSRC2:SCRATCH_EN: 1
; COMPUTE_PGM_RSRC2:USER_SGPR: 2
; COMPUTE_PGM_RSRC2:TRAP_HANDLER: 0
; COMPUTE_PGM_RSRC2:TGID_X_EN: 1
; COMPUTE_PGM_RSRC2:TGID_Y_EN: 0
; COMPUTE_PGM_RSRC2:TGID_Z_EN: 0
; COMPUTE_PGM_RSRC2:TIDIG_COMP_CNT: 0
	.text
	.p2alignl 7, 3214868480
	.fill 96, 4, 3214868480
	.type	__hip_cuid_75bc36e085614edc,@object ; @__hip_cuid_75bc36e085614edc
	.section	.bss,"aw",@nobits
	.globl	__hip_cuid_75bc36e085614edc
__hip_cuid_75bc36e085614edc:
	.byte	0                               ; 0x0
	.size	__hip_cuid_75bc36e085614edc, 1

	.ident	"AMD clang version 19.0.0git (https://github.com/RadeonOpenCompute/llvm-project roc-6.4.0 25133 c7fe45cf4b819c5991fe208aaa96edf142730f1d)"
	.section	".note.GNU-stack","",@progbits
	.addrsig
	.addrsig_sym __hip_cuid_75bc36e085614edc
	.amdgpu_metadata
---
amdhsa.kernels:
  - .args:
      - .actual_access:  read_only
        .address_space:  global
        .offset:         0
        .size:           8
        .value_kind:     global_buffer
      - .actual_access:  read_only
        .address_space:  global
        .offset:         8
        .size:           8
        .value_kind:     global_buffer
      - .actual_access:  read_only
        .address_space:  global
        .offset:         16
        .size:           8
        .value_kind:     global_buffer
      - .actual_access:  read_only
        .address_space:  global
        .offset:         24
        .size:           8
        .value_kind:     global_buffer
      - .actual_access:  read_only
        .address_space:  global
        .offset:         32
        .size:           8
        .value_kind:     global_buffer
      - .offset:         40
        .size:           8
        .value_kind:     by_value
      - .address_space:  global
        .offset:         48
        .size:           8
        .value_kind:     global_buffer
      - .address_space:  global
        .offset:         56
        .size:           8
        .value_kind:     global_buffer
      - .address_space:  global
        .offset:         64
        .size:           8
        .value_kind:     global_buffer
      - .address_space:  global
        .offset:         72
        .size:           8
        .value_kind:     global_buffer
      - .offset:         80
        .size:           4
        .value_kind:     by_value
      - .address_space:  global
        .offset:         88
        .size:           8
        .value_kind:     global_buffer
      - .address_space:  global
        .offset:         96
        .size:           8
        .value_kind:     global_buffer
    .group_segment_fixed_size: 17136
    .kernarg_segment_align: 8
    .kernarg_segment_size: 104
    .language:       OpenCL C
    .language_version:
      - 2
      - 0
    .max_flat_workgroup_size: 119
    .name:           bluestein_single_fwd_len153_dim1_dp_op_CI_CI
    .private_segment_fixed_size: 640
    .sgpr_count:     56
    .sgpr_spill_count: 0
    .symbol:         bluestein_single_fwd_len153_dim1_dp_op_CI_CI.kd
    .uniform_work_group_size: 1
    .uses_dynamic_stack: false
    .vgpr_count:     256
    .vgpr_spill_count: 199
    .wavefront_size: 32
    .workgroup_processor_mode: 1
amdhsa.target:   amdgcn-amd-amdhsa--gfx1201
amdhsa.version:
  - 1
  - 2
...

	.end_amdgpu_metadata
